;; amdgpu-corpus repo=ROCm/rocFFT kind=compiled arch=gfx1201 opt=O3
	.text
	.amdgcn_target "amdgcn-amd-amdhsa--gfx1201"
	.amdhsa_code_object_version 6
	.protected	fft_rtc_fwd_len975_factors_13_5_3_5_wgs_117_tpt_39_halfLds_sp_op_CI_CI_sbrr_dirReg ; -- Begin function fft_rtc_fwd_len975_factors_13_5_3_5_wgs_117_tpt_39_halfLds_sp_op_CI_CI_sbrr_dirReg
	.globl	fft_rtc_fwd_len975_factors_13_5_3_5_wgs_117_tpt_39_halfLds_sp_op_CI_CI_sbrr_dirReg
	.p2align	8
	.type	fft_rtc_fwd_len975_factors_13_5_3_5_wgs_117_tpt_39_halfLds_sp_op_CI_CI_sbrr_dirReg,@function
fft_rtc_fwd_len975_factors_13_5_3_5_wgs_117_tpt_39_halfLds_sp_op_CI_CI_sbrr_dirReg: ; @fft_rtc_fwd_len975_factors_13_5_3_5_wgs_117_tpt_39_halfLds_sp_op_CI_CI_sbrr_dirReg
; %bb.0:
	s_clause 0x1
	s_load_b128 s[12:15], s[0:1], 0x18
	s_load_b128 s[8:11], s[0:1], 0x0
	v_mul_u32_u24_e32 v1, 0x691, v0
	v_mov_b32_e32 v5, 0
	v_mov_b32_e32 v59, 0
	v_mov_b32_e32 v60, 0
	s_load_b128 s[4:7], s[0:1], 0x58
	s_wait_kmcnt 0x0
	s_load_b64 s[18:19], s[12:13], 0x0
	s_load_b64 s[16:17], s[14:15], 0x0
	v_lshrrev_b32_e32 v1, 16, v1
	v_cmp_lt_u64_e64 s2, s[10:11], 2
	s_delay_alu instid0(VALU_DEP_2) | instskip(SKIP_2) | instid1(VALU_DEP_4)
	v_mad_co_u64_u32 v[57:58], null, ttmp9, 3, v[1:2]
	v_dual_mov_b32 v58, v5 :: v_dual_mov_b32 v1, v59
	v_mov_b32_e32 v2, v60
	s_and_b32 vcc_lo, exec_lo, s2
	s_delay_alu instid0(VALU_DEP_2)
	v_dual_mov_b32 v3, v57 :: v_dual_mov_b32 v4, v58
	s_cbranch_vccnz .LBB0_8
; %bb.1:
	s_load_b64 s[2:3], s[0:1], 0x10
	v_mov_b32_e32 v59, 0
	v_dual_mov_b32 v60, 0 :: v_dual_mov_b32 v7, v57
	s_delay_alu instid0(VALU_DEP_2) | instskip(SKIP_1) | instid1(VALU_DEP_2)
	v_dual_mov_b32 v8, v58 :: v_dual_mov_b32 v1, v59
	s_add_nc_u64 s[20:21], s[14:15], 8
	v_mov_b32_e32 v2, v60
	s_add_nc_u64 s[22:23], s[12:13], 8
	s_mov_b64 s[24:25], 1
	s_wait_kmcnt 0x0
	s_add_nc_u64 s[26:27], s[2:3], 8
	s_mov_b32 s3, 0
.LBB0_2:                                ; =>This Inner Loop Header: Depth=1
	s_load_b64 s[28:29], s[26:27], 0x0
                                        ; implicit-def: $vgpr3_vgpr4
	s_mov_b32 s2, exec_lo
	s_wait_kmcnt 0x0
	v_or_b32_e32 v6, s29, v8
	s_delay_alu instid0(VALU_DEP_1)
	v_cmpx_ne_u64_e32 0, v[5:6]
	s_wait_alu 0xfffe
	s_xor_b32 s30, exec_lo, s2
	s_cbranch_execz .LBB0_4
; %bb.3:                                ;   in Loop: Header=BB0_2 Depth=1
	s_cvt_f32_u32 s2, s28
	s_cvt_f32_u32 s31, s29
	s_sub_nc_u64 s[36:37], 0, s[28:29]
	s_wait_alu 0xfffe
	s_delay_alu instid0(SALU_CYCLE_1) | instskip(SKIP_1) | instid1(SALU_CYCLE_2)
	s_fmamk_f32 s2, s31, 0x4f800000, s2
	s_wait_alu 0xfffe
	v_s_rcp_f32 s2, s2
	s_delay_alu instid0(TRANS32_DEP_1) | instskip(SKIP_1) | instid1(SALU_CYCLE_2)
	s_mul_f32 s2, s2, 0x5f7ffffc
	s_wait_alu 0xfffe
	s_mul_f32 s31, s2, 0x2f800000
	s_wait_alu 0xfffe
	s_delay_alu instid0(SALU_CYCLE_2) | instskip(SKIP_1) | instid1(SALU_CYCLE_2)
	s_trunc_f32 s31, s31
	s_wait_alu 0xfffe
	s_fmamk_f32 s2, s31, 0xcf800000, s2
	s_cvt_u32_f32 s35, s31
	s_wait_alu 0xfffe
	s_delay_alu instid0(SALU_CYCLE_1) | instskip(SKIP_1) | instid1(SALU_CYCLE_2)
	s_cvt_u32_f32 s34, s2
	s_wait_alu 0xfffe
	s_mul_u64 s[38:39], s[36:37], s[34:35]
	s_wait_alu 0xfffe
	s_mul_hi_u32 s41, s34, s39
	s_mul_i32 s40, s34, s39
	s_mul_hi_u32 s2, s34, s38
	s_mul_i32 s33, s35, s38
	s_wait_alu 0xfffe
	s_add_nc_u64 s[40:41], s[2:3], s[40:41]
	s_mul_hi_u32 s31, s35, s38
	s_mul_hi_u32 s42, s35, s39
	s_add_co_u32 s2, s40, s33
	s_wait_alu 0xfffe
	s_add_co_ci_u32 s2, s41, s31
	s_mul_i32 s38, s35, s39
	s_add_co_ci_u32 s39, s42, 0
	s_wait_alu 0xfffe
	s_add_nc_u64 s[38:39], s[2:3], s[38:39]
	s_wait_alu 0xfffe
	v_add_co_u32 v3, s2, s34, s38
	s_delay_alu instid0(VALU_DEP_1) | instskip(SKIP_1) | instid1(VALU_DEP_1)
	s_cmp_lg_u32 s2, 0
	s_add_co_ci_u32 s35, s35, s39
	v_readfirstlane_b32 s34, v3
	s_wait_alu 0xfffe
	s_delay_alu instid0(VALU_DEP_1)
	s_mul_u64 s[36:37], s[36:37], s[34:35]
	s_wait_alu 0xfffe
	s_mul_hi_u32 s39, s34, s37
	s_mul_i32 s38, s34, s37
	s_mul_hi_u32 s2, s34, s36
	s_mul_i32 s33, s35, s36
	s_wait_alu 0xfffe
	s_add_nc_u64 s[38:39], s[2:3], s[38:39]
	s_mul_hi_u32 s31, s35, s36
	s_mul_hi_u32 s34, s35, s37
	s_wait_alu 0xfffe
	s_add_co_u32 s2, s38, s33
	s_add_co_ci_u32 s2, s39, s31
	s_mul_i32 s36, s35, s37
	s_add_co_ci_u32 s37, s34, 0
	s_wait_alu 0xfffe
	s_add_nc_u64 s[36:37], s[2:3], s[36:37]
	s_wait_alu 0xfffe
	v_add_co_u32 v6, s2, v3, s36
	s_delay_alu instid0(VALU_DEP_1) | instskip(SKIP_1) | instid1(VALU_DEP_1)
	s_cmp_lg_u32 s2, 0
	s_add_co_ci_u32 s2, s35, s37
	v_mul_hi_u32 v13, v7, v6
	s_wait_alu 0xfffe
	v_mad_co_u64_u32 v[3:4], null, v7, s2, 0
	v_mad_co_u64_u32 v[9:10], null, v8, v6, 0
	;; [unrolled: 1-line block ×3, first 2 shown]
	s_delay_alu instid0(VALU_DEP_3) | instskip(SKIP_1) | instid1(VALU_DEP_4)
	v_add_co_u32 v3, vcc_lo, v13, v3
	s_wait_alu 0xfffd
	v_add_co_ci_u32_e32 v4, vcc_lo, 0, v4, vcc_lo
	s_delay_alu instid0(VALU_DEP_2) | instskip(SKIP_1) | instid1(VALU_DEP_2)
	v_add_co_u32 v3, vcc_lo, v3, v9
	s_wait_alu 0xfffd
	v_add_co_ci_u32_e32 v3, vcc_lo, v4, v10, vcc_lo
	s_wait_alu 0xfffd
	v_add_co_ci_u32_e32 v4, vcc_lo, 0, v12, vcc_lo
	s_delay_alu instid0(VALU_DEP_2) | instskip(SKIP_1) | instid1(VALU_DEP_2)
	v_add_co_u32 v6, vcc_lo, v3, v11
	s_wait_alu 0xfffd
	v_add_co_ci_u32_e32 v9, vcc_lo, 0, v4, vcc_lo
	s_delay_alu instid0(VALU_DEP_2) | instskip(SKIP_1) | instid1(VALU_DEP_3)
	v_mul_lo_u32 v10, s29, v6
	v_mad_co_u64_u32 v[3:4], null, s28, v6, 0
	v_mul_lo_u32 v11, s28, v9
	s_delay_alu instid0(VALU_DEP_2) | instskip(NEXT) | instid1(VALU_DEP_2)
	v_sub_co_u32 v3, vcc_lo, v7, v3
	v_add3_u32 v4, v4, v11, v10
	s_delay_alu instid0(VALU_DEP_1) | instskip(SKIP_1) | instid1(VALU_DEP_1)
	v_sub_nc_u32_e32 v10, v8, v4
	s_wait_alu 0xfffd
	v_subrev_co_ci_u32_e64 v10, s2, s29, v10, vcc_lo
	v_add_co_u32 v11, s2, v6, 2
	s_wait_alu 0xf1ff
	v_add_co_ci_u32_e64 v12, s2, 0, v9, s2
	v_sub_co_u32 v13, s2, v3, s28
	v_sub_co_ci_u32_e32 v4, vcc_lo, v8, v4, vcc_lo
	s_wait_alu 0xf1ff
	v_subrev_co_ci_u32_e64 v10, s2, 0, v10, s2
	s_delay_alu instid0(VALU_DEP_3) | instskip(NEXT) | instid1(VALU_DEP_3)
	v_cmp_le_u32_e32 vcc_lo, s28, v13
	v_cmp_eq_u32_e64 s2, s29, v4
	s_wait_alu 0xfffd
	v_cndmask_b32_e64 v13, 0, -1, vcc_lo
	v_cmp_le_u32_e32 vcc_lo, s29, v10
	s_wait_alu 0xfffd
	v_cndmask_b32_e64 v14, 0, -1, vcc_lo
	v_cmp_le_u32_e32 vcc_lo, s28, v3
	;; [unrolled: 3-line block ×3, first 2 shown]
	s_wait_alu 0xfffd
	v_cndmask_b32_e64 v15, 0, -1, vcc_lo
	v_cmp_eq_u32_e32 vcc_lo, s29, v10
	s_wait_alu 0xf1ff
	s_delay_alu instid0(VALU_DEP_2)
	v_cndmask_b32_e64 v3, v15, v3, s2
	s_wait_alu 0xfffd
	v_cndmask_b32_e32 v10, v14, v13, vcc_lo
	v_add_co_u32 v13, vcc_lo, v6, 1
	s_wait_alu 0xfffd
	v_add_co_ci_u32_e32 v14, vcc_lo, 0, v9, vcc_lo
	s_delay_alu instid0(VALU_DEP_3) | instskip(SKIP_1) | instid1(VALU_DEP_2)
	v_cmp_ne_u32_e32 vcc_lo, 0, v10
	s_wait_alu 0xfffd
	v_cndmask_b32_e32 v4, v14, v12, vcc_lo
	v_cndmask_b32_e32 v10, v13, v11, vcc_lo
	v_cmp_ne_u32_e32 vcc_lo, 0, v3
	s_wait_alu 0xfffd
	s_delay_alu instid0(VALU_DEP_2)
	v_dual_cndmask_b32 v4, v9, v4 :: v_dual_cndmask_b32 v3, v6, v10
.LBB0_4:                                ;   in Loop: Header=BB0_2 Depth=1
	s_wait_alu 0xfffe
	s_and_not1_saveexec_b32 s2, s30
	s_cbranch_execz .LBB0_6
; %bb.5:                                ;   in Loop: Header=BB0_2 Depth=1
	v_cvt_f32_u32_e32 v3, s28
	s_sub_co_i32 s30, 0, s28
	s_delay_alu instid0(VALU_DEP_1) | instskip(NEXT) | instid1(TRANS32_DEP_1)
	v_rcp_iflag_f32_e32 v3, v3
	v_mul_f32_e32 v3, 0x4f7ffffe, v3
	s_delay_alu instid0(VALU_DEP_1) | instskip(SKIP_1) | instid1(VALU_DEP_1)
	v_cvt_u32_f32_e32 v3, v3
	s_wait_alu 0xfffe
	v_mul_lo_u32 v4, s30, v3
	s_delay_alu instid0(VALU_DEP_1) | instskip(NEXT) | instid1(VALU_DEP_1)
	v_mul_hi_u32 v4, v3, v4
	v_add_nc_u32_e32 v3, v3, v4
	s_delay_alu instid0(VALU_DEP_1) | instskip(NEXT) | instid1(VALU_DEP_1)
	v_mul_hi_u32 v3, v7, v3
	v_mul_lo_u32 v4, v3, s28
	v_add_nc_u32_e32 v6, 1, v3
	s_delay_alu instid0(VALU_DEP_2) | instskip(NEXT) | instid1(VALU_DEP_1)
	v_sub_nc_u32_e32 v4, v7, v4
	v_subrev_nc_u32_e32 v9, s28, v4
	v_cmp_le_u32_e32 vcc_lo, s28, v4
	s_wait_alu 0xfffd
	s_delay_alu instid0(VALU_DEP_2) | instskip(NEXT) | instid1(VALU_DEP_1)
	v_dual_cndmask_b32 v4, v4, v9 :: v_dual_cndmask_b32 v3, v3, v6
	v_cmp_le_u32_e32 vcc_lo, s28, v4
	v_mov_b32_e32 v4, v5
	s_delay_alu instid0(VALU_DEP_3) | instskip(SKIP_1) | instid1(VALU_DEP_1)
	v_add_nc_u32_e32 v6, 1, v3
	s_wait_alu 0xfffd
	v_cndmask_b32_e32 v3, v3, v6, vcc_lo
.LBB0_6:                                ;   in Loop: Header=BB0_2 Depth=1
	s_wait_alu 0xfffe
	s_or_b32 exec_lo, exec_lo, s2
	v_mul_lo_u32 v6, v4, s28
	s_delay_alu instid0(VALU_DEP_2)
	v_mul_lo_u32 v11, v3, s29
	s_load_b64 s[30:31], s[22:23], 0x0
	v_mad_co_u64_u32 v[9:10], null, v3, s28, 0
	s_load_b64 s[28:29], s[20:21], 0x0
	s_add_nc_u64 s[24:25], s[24:25], 1
	s_add_nc_u64 s[20:21], s[20:21], 8
	s_wait_alu 0xfffe
	v_cmp_ge_u64_e64 s2, s[24:25], s[10:11]
	s_add_nc_u64 s[22:23], s[22:23], 8
	s_add_nc_u64 s[26:27], s[26:27], 8
	v_add3_u32 v6, v10, v11, v6
	v_sub_co_u32 v7, vcc_lo, v7, v9
	s_wait_alu 0xfffd
	s_delay_alu instid0(VALU_DEP_2) | instskip(SKIP_2) | instid1(VALU_DEP_1)
	v_sub_co_ci_u32_e32 v6, vcc_lo, v8, v6, vcc_lo
	s_and_b32 vcc_lo, exec_lo, s2
	s_wait_kmcnt 0x0
	v_mul_lo_u32 v8, s30, v6
	v_mul_lo_u32 v9, s31, v7
	v_mad_co_u64_u32 v[59:60], null, s30, v7, v[59:60]
	v_mul_lo_u32 v6, s28, v6
	v_mul_lo_u32 v10, s29, v7
	v_mad_co_u64_u32 v[1:2], null, s28, v7, v[1:2]
	s_delay_alu instid0(VALU_DEP_4) | instskip(NEXT) | instid1(VALU_DEP_2)
	v_add3_u32 v60, v9, v60, v8
	v_add3_u32 v2, v10, v2, v6
	s_wait_alu 0xfffe
	s_cbranch_vccnz .LBB0_8
; %bb.7:                                ;   in Loop: Header=BB0_2 Depth=1
	v_dual_mov_b32 v8, v4 :: v_dual_mov_b32 v7, v3
	s_branch .LBB0_2
.LBB0_8:
	s_load_b64 s[0:1], s[0:1], 0x28
	v_mul_hi_u32 v7, 0x6906907, v0
	s_lshl_b64 s[10:11], s[10:11], 3
                                        ; implicit-def: $vgpr58
	s_wait_alu 0xfffe
	s_add_nc_u64 s[2:3], s[14:15], s[10:11]
                                        ; implicit-def: $sgpr14
	s_wait_kmcnt 0x0
	v_cmp_gt_u64_e32 vcc_lo, s[0:1], v[3:4]
	v_cmp_le_u64_e64 s0, s[0:1], v[3:4]
	s_delay_alu instid0(VALU_DEP_1)
	s_and_saveexec_b32 s1, s0
	s_wait_alu 0xfffe
	s_xor_b32 s0, exec_lo, s1
; %bb.9:
	v_mul_u32_u24_e32 v5, 39, v7
	s_mov_b32 s14, 0
                                        ; implicit-def: $vgpr7
                                        ; implicit-def: $vgpr59_vgpr60
	s_delay_alu instid0(VALU_DEP_1)
	v_sub_nc_u32_e32 v58, v0, v5
                                        ; implicit-def: $vgpr0
; %bb.10:
	s_wait_alu 0xfffe
	s_or_saveexec_b32 s1, s0
	s_load_b64 s[2:3], s[2:3], 0x0
	v_dual_mov_b32 v6, s14 :: v_dual_mov_b32 v5, s14
                                        ; implicit-def: $vgpr42
                                        ; implicit-def: $vgpr50
                                        ; implicit-def: $vgpr48
                                        ; implicit-def: $vgpr34
                                        ; implicit-def: $vgpr44
                                        ; implicit-def: $vgpr18
                                        ; implicit-def: $vgpr8
                                        ; implicit-def: $vgpr16
                                        ; implicit-def: $vgpr14
                                        ; implicit-def: $vgpr10
                                        ; implicit-def: $vgpr36
                                        ; implicit-def: $vgpr26
                                        ; implicit-def: $vgpr22
                                        ; implicit-def: $vgpr24
                                        ; implicit-def: $vgpr28
                                        ; implicit-def: $vgpr30
                                        ; implicit-def: $vgpr32
                                        ; implicit-def: $vgpr38
                                        ; implicit-def: $vgpr20
                                        ; implicit-def: $vgpr54
                                        ; implicit-def: $vgpr56
                                        ; implicit-def: $vgpr52
                                        ; implicit-def: $vgpr46
                                        ; implicit-def: $vgpr40
                                        ; implicit-def: $vgpr12
	s_xor_b32 exec_lo, exec_lo, s1
	s_cbranch_execz .LBB0_14
; %bb.11:
	v_mul_u32_u24_e32 v5, 39, v7
	s_add_nc_u64 s[10:11], s[12:13], s[10:11]
                                        ; implicit-def: $vgpr37
	s_load_b64 s[10:11], s[10:11], 0x0
	s_delay_alu instid0(VALU_DEP_1) | instskip(SKIP_1) | instid1(VALU_DEP_2)
	v_sub_nc_u32_e32 v58, v0, v5
	v_lshlrev_b64_e32 v[5:6], 3, v[59:60]
	v_mad_co_u64_u32 v[7:8], null, s18, v58, 0
	v_add_nc_u32_e32 v23, 0xe1, v58
	v_add_nc_u32_e32 v25, 0x12c, v58
	;; [unrolled: 1-line block ×4, first 2 shown]
	v_dual_mov_b32 v0, v8 :: v_dual_add_nc_u32 v35, 0x384, v58
	s_delay_alu instid0(VALU_DEP_3) | instskip(SKIP_1) | instid1(VALU_DEP_3)
	v_mad_co_u64_u32 v[11:12], null, s18, v22, 0
	v_mad_co_u64_u32 v[15:16], null, s18, v23, 0
	;; [unrolled: 1-line block ×3, first 2 shown]
	s_wait_kmcnt 0x0
	v_mul_lo_u32 v8, s11, v3
	v_mul_lo_u32 v21, s10, v4
	v_mad_co_u64_u32 v[13:14], null, s10, v3, 0
	v_mad_co_u64_u32 v[18:19], null, s18, v25, 0
	v_add_nc_u32_e32 v20, 0x4b, v58
	v_mad_co_u64_u32 v[30:31], null, s18, v35, 0
	s_delay_alu instid0(VALU_DEP_4) | instskip(NEXT) | instid1(VALU_DEP_3)
	v_add3_u32 v14, v14, v21, v8
	v_mad_co_u64_u32 v[9:10], null, s18, v20, 0
	v_mov_b32_e32 v8, v17
	s_delay_alu instid0(VALU_DEP_3) | instskip(NEXT) | instid1(VALU_DEP_2)
	v_lshlrev_b64_e32 v[13:14], 3, v[13:14]
	v_lshlrev_b64_e32 v[7:8], 3, v[7:8]
	s_delay_alu instid0(VALU_DEP_4) | instskip(SKIP_2) | instid1(VALU_DEP_3)
	v_mov_b32_e32 v0, v10
	v_mov_b32_e32 v10, v12
	;; [unrolled: 1-line block ×3, first 2 shown]
	v_mad_co_u64_u32 v[20:21], null, s19, v20, v[0:1]
	s_delay_alu instid0(VALU_DEP_3) | instskip(SKIP_1) | instid1(VALU_DEP_4)
	v_mad_co_u64_u32 v[16:17], null, s19, v22, v[10:11]
	v_add_co_u32 v0, s0, s4, v13
	v_mad_co_u64_u32 v[21:22], null, s19, v23, v[12:13]
	s_wait_alu 0xf1ff
	v_add_co_ci_u32_e64 v12, s0, s5, v14, s0
	s_delay_alu instid0(VALU_DEP_3) | instskip(SKIP_2) | instid1(VALU_DEP_3)
	v_add_co_u32 v0, s0, v0, v5
	v_mov_b32_e32 v10, v20
	s_wait_alu 0xf1ff
	v_add_co_ci_u32_e64 v24, s0, v12, v6, s0
	v_mov_b32_e32 v12, v16
	v_mov_b32_e32 v16, v21
	v_lshlrev_b64_e32 v[5:6], 3, v[9:10]
	v_mov_b32_e32 v9, v19
	v_add_nc_u32_e32 v17, 0x177, v58
	v_lshlrev_b64_e32 v[10:11], 3, v[11:12]
	v_add_co_u32 v7, s0, v0, v7
	s_wait_alu 0xf1ff
	v_add_co_ci_u32_e64 v8, s0, v24, v8, s0
	v_lshlrev_b64_e32 v[12:13], 3, v[15:16]
	s_delay_alu instid0(VALU_DEP_4)
	v_mad_co_u64_u32 v[14:15], null, s19, v25, v[9:10]
	v_add_co_u32 v5, s0, v0, v5
	v_mad_co_u64_u32 v[15:16], null, s18, v17, 0
	s_wait_alu 0xf1ff
	v_add_co_ci_u32_e64 v6, s0, v24, v6, s0
	v_add_co_u32 v9, s0, v0, v10
	s_wait_alu 0xf1ff
	v_add_co_ci_u32_e64 v10, s0, v24, v11, s0
	v_add_co_u32 v11, s0, v0, v12
	s_wait_alu 0xf1ff
	v_add_co_ci_u32_e64 v12, s0, v24, v13, s0
	v_dual_mov_b32 v13, v16 :: v_dual_add_nc_u32 v22, 0x1c2, v58
	v_mov_b32_e32 v19, v14
	s_clause 0x3
	global_load_b64 v[41:42], v[7:8], off
	global_load_b64 v[49:50], v[5:6], off
	;; [unrolled: 1-line block ×4, first 2 shown]
	v_add_nc_u32_e32 v23, 0x2ee, v58
	v_mad_co_u64_u32 v[13:14], null, s19, v17, v[13:14]
	v_mad_co_u64_u32 v[20:21], null, s18, v22, 0
	v_add_nc_u32_e32 v14, 0x20d, v58
	v_lshlrev_b64_e32 v[5:6], 3, v[18:19]
	v_add_nc_u32_e32 v17, 0x258, v58
	s_mov_b32 s4, exec_lo
	v_mov_b32_e32 v16, v13
	v_mad_co_u64_u32 v[8:9], null, s18, v14, 0
	v_mov_b32_e32 v7, v21
	v_add_co_u32 v5, s0, v0, v5
	s_wait_alu 0xf1ff
	v_add_co_ci_u32_e64 v6, s0, v24, v6, s0
	s_delay_alu instid0(VALU_DEP_3) | instskip(SKIP_2) | instid1(VALU_DEP_3)
	v_mad_co_u64_u32 v[10:11], null, s19, v22, v[7:8]
	v_mov_b32_e32 v7, v9
	v_lshlrev_b64_e32 v[11:12], 3, v[15:16]
	v_mov_b32_e32 v21, v10
	s_delay_alu instid0(VALU_DEP_3) | instskip(NEXT) | instid1(VALU_DEP_3)
	v_mad_co_u64_u32 v[9:10], null, s19, v14, v[7:8]
	v_add_co_u32 v10, s0, v0, v11
	v_mad_co_u64_u32 v[13:14], null, s18, v17, 0
	s_wait_alu 0xf1ff
	v_add_co_ci_u32_e64 v11, s0, v24, v12, s0
	v_lshlrev_b64_e32 v[15:16], 3, v[20:21]
	v_mad_co_u64_u32 v[21:22], null, s18, v23, 0
	v_add_nc_u32_e32 v12, 0x2a3, v58
	v_lshlrev_b64_e32 v[8:9], 3, v[8:9]
	v_mov_b32_e32 v7, v14
	v_add_co_u32 v15, s0, v0, v15
	s_delay_alu instid0(VALU_DEP_4) | instskip(NEXT) | instid1(VALU_DEP_3)
	v_mad_co_u64_u32 v[19:20], null, s18, v12, 0
	v_mad_co_u64_u32 v[17:18], null, s19, v17, v[7:8]
	s_wait_alu 0xf1ff
	v_add_co_ci_u32_e64 v16, s0, v24, v16, s0
	v_add_co_u32 v25, s0, v0, v8
	s_delay_alu instid0(VALU_DEP_4) | instskip(SKIP_3) | instid1(VALU_DEP_3)
	v_mov_b32_e32 v7, v20
	s_wait_alu 0xf1ff
	v_add_co_ci_u32_e64 v26, s0, v24, v9, s0
	v_mov_b32_e32 v14, v17
	v_mad_co_u64_u32 v[27:28], null, s19, v12, v[7:8]
	v_mov_b32_e32 v7, v22
	v_mad_co_u64_u32 v[28:29], null, s18, v32, 0
	s_delay_alu instid0(VALU_DEP_2)
	v_mad_co_u64_u32 v[22:23], null, s19, v23, v[7:8]
	s_clause 0x3
	global_load_b64 v[43:44], v[5:6], off
	global_load_b64 v[17:18], v[10:11], off
	;; [unrolled: 1-line block ×4, first 2 shown]
	v_lshlrev_b64_e32 v[9:10], 3, v[13:14]
	v_mov_b32_e32 v5, v29
                                        ; implicit-def: $vgpr23
                                        ; implicit-def: $vgpr25
	s_delay_alu instid0(VALU_DEP_1)
	v_mad_co_u64_u32 v[5:6], null, s19, v32, v[5:6]
	v_mov_b32_e32 v6, v31
	v_mov_b32_e32 v20, v27
	v_add_co_u32 v9, s0, v0, v9
	s_wait_alu 0xf1ff
	v_add_co_ci_u32_e64 v10, s0, v24, v10, s0
	v_mov_b32_e32 v29, v5
	v_lshlrev_b64_e32 v[13:14], 3, v[19:20]
	v_lshlrev_b64_e32 v[19:20], 3, v[21:22]
                                        ; implicit-def: $vgpr27
                                        ; implicit-def: $vgpr21
	s_delay_alu instid0(VALU_DEP_2)
	v_add_co_u32 v5, s0, v0, v13
	s_wait_loadcnt 0x1
	v_mad_co_u64_u32 v[15:16], null, s19, v35, v[6:7]
	s_wait_alu 0xf1ff
	v_add_co_ci_u32_e64 v6, s0, v24, v14, s0
	v_lshlrev_b64_e32 v[13:14], 3, v[28:29]
                                        ; implicit-def: $vgpr29
                                        ; implicit-def: $vgpr35
	s_delay_alu instid0(VALU_DEP_3) | instskip(SKIP_3) | instid1(VALU_DEP_3)
	v_mov_b32_e32 v31, v15
	v_add_co_u32 v15, s0, v0, v19
	s_wait_alu 0xf1ff
	v_add_co_ci_u32_e64 v16, s0, v24, v20, s0
	v_lshlrev_b64_e32 v[19:20], 3, v[30:31]
	v_add_co_u32 v13, s0, v0, v13
	s_wait_alu 0xf1ff
	v_add_co_ci_u32_e64 v14, s0, v24, v14, s0
                                        ; implicit-def: $vgpr31
	s_delay_alu instid0(VALU_DEP_3)
	v_add_co_u32 v19, s0, v0, v19
	s_wait_alu 0xf1ff
	v_add_co_ci_u32_e64 v20, s0, v24, v20, s0
	s_clause 0x4
	global_load_b64 v[39:40], v[9:10], off
	global_load_b64 v[45:46], v[5:6], off
	;; [unrolled: 1-line block ×5, first 2 shown]
	v_dual_mov_b32 v5, 0 :: v_dual_mov_b32 v6, 0
                                        ; implicit-def: $vgpr19
                                        ; implicit-def: $vgpr9
                                        ; implicit-def: $vgpr13
                                        ; implicit-def: $vgpr15
	v_cmpx_gt_u32_e32 36, v58
	s_cbranch_execz .LBB0_13
; %bb.12:
	v_add_nc_u32_e32 v30, 0x1e9, v58
	v_add_nc_u32_e32 v31, 0x234, v58
	;; [unrolled: 1-line block ×5, first 2 shown]
	v_mad_co_u64_u32 v[27:28], null, s18, v30, 0
	v_add_nc_u32_e32 v22, 0xbd, v58
	s_delay_alu instid0(VALU_DEP_4) | instskip(SKIP_1) | instid1(VALU_DEP_3)
	v_mad_co_u64_u32 v[37:38], null, s18, v35, 0
	v_add_nc_u32_e32 v29, 0x19e, v58
	v_mad_co_u64_u32 v[13:14], null, s18, v22, 0
	v_add_nc_u32_e32 v19, 39, v58
	s_delay_alu instid0(VALU_DEP_1) | instskip(NEXT) | instid1(VALU_DEP_1)
	v_mad_co_u64_u32 v[5:6], null, s18, v19, 0
	v_mad_co_u64_u32 v[19:20], null, s19, v19, v[6:7]
	s_delay_alu instid0(VALU_DEP_4) | instskip(NEXT) | instid1(VALU_DEP_1)
	v_dual_mov_b32 v6, v14 :: v_dual_add_nc_u32 v23, 0x108, v58
	v_mad_co_u64_u32 v[15:16], null, s18, v23, 0
	s_delay_alu instid0(VALU_DEP_1) | instskip(NEXT) | instid1(VALU_DEP_1)
	v_dual_mov_b32 v14, v16 :: v_dual_add_nc_u32 v21, 0x72, v58
	v_mad_co_u64_u32 v[9:10], null, s18, v21, 0
	s_wait_loadcnt 0x5
	s_delay_alu instid0(VALU_DEP_1) | instskip(SKIP_3) | instid1(VALU_DEP_4)
	v_mad_co_u64_u32 v[20:21], null, s19, v21, v[10:11]
	v_mad_co_u64_u32 v[21:22], null, s19, v22, v[6:7]
	v_mov_b32_e32 v6, v19
	v_mad_co_u64_u32 v[22:23], null, s19, v23, v[14:15]
	v_dual_mov_b32 v10, v20 :: v_dual_add_nc_u32 v23, 0x153, v58
	s_delay_alu instid0(VALU_DEP_3) | instskip(SKIP_1) | instid1(VALU_DEP_3)
	v_lshlrev_b64_e32 v[5:6], 3, v[5:6]
	v_mov_b32_e32 v14, v21
	v_mad_co_u64_u32 v[19:20], null, s18, v23, 0
	s_delay_alu instid0(VALU_DEP_4)
	v_lshlrev_b64_e32 v[9:10], 3, v[9:10]
	v_mov_b32_e32 v16, v22
	v_add_co_u32 v5, s0, v0, v5
	v_lshlrev_b64_e32 v[13:14], 3, v[13:14]
	s_wait_alu 0xf1ff
	v_add_co_ci_u32_e64 v6, s0, v24, v6, s0
	v_mad_co_u64_u32 v[20:21], null, s19, v23, v[20:21]
	v_mad_co_u64_u32 v[21:22], null, s18, v29, 0
	v_add_co_u32 v9, s0, v0, v9
	v_lshlrev_b64_e32 v[15:16], 3, v[15:16]
	s_wait_alu 0xf1ff
	v_add_co_ci_u32_e64 v10, s0, v24, v10, s0
	v_add_co_u32 v13, s0, v0, v13
	s_wait_alu 0xf1ff
	v_add_co_ci_u32_e64 v14, s0, v24, v14, s0
	v_add_co_u32 v25, s0, v0, v15
	v_mov_b32_e32 v15, v22
	s_wait_alu 0xf1ff
	v_add_co_ci_u32_e64 v26, s0, v24, v16, s0
	v_lshlrev_b64_e32 v[19:20], 3, v[19:20]
	s_delay_alu instid0(VALU_DEP_3)
	v_mad_co_u64_u32 v[22:23], null, s19, v29, v[15:16]
	s_clause 0x3
	global_load_b64 v[5:6], v[5:6], off
	global_load_b64 v[15:16], v[9:10], off
	;; [unrolled: 1-line block ×4, first 2 shown]
	v_mad_co_u64_u32 v[25:26], null, s18, v31, 0
	v_mov_b32_e32 v23, v28
	v_add_co_u32 v19, s0, v0, v19
	v_lshlrev_b64_e32 v[21:22], 3, v[21:22]
	s_wait_alu 0xf1ff
	v_add_co_ci_u32_e64 v20, s0, v24, v20, s0
	v_mad_co_u64_u32 v[28:29], null, s19, v30, v[23:24]
	v_mov_b32_e32 v23, v26
	s_delay_alu instid0(VALU_DEP_4) | instskip(SKIP_2) | instid1(VALU_DEP_3)
	v_add_co_u32 v21, s0, v0, v21
	s_wait_alu 0xf1ff
	v_add_co_ci_u32_e64 v22, s0, v24, v22, s0
	v_mad_co_u64_u32 v[29:30], null, s19, v31, v[23:24]
	v_mad_co_u64_u32 v[30:31], null, s18, v32, 0
	v_lshlrev_b64_e32 v[27:28], 3, v[27:28]
	s_delay_alu instid0(VALU_DEP_3) | instskip(NEXT) | instid1(VALU_DEP_3)
	v_dual_mov_b32 v26, v29 :: v_dual_add_nc_u32 v29, 0x315, v58
	v_mov_b32_e32 v23, v31
	s_delay_alu instid0(VALU_DEP_3) | instskip(NEXT) | instid1(VALU_DEP_3)
	v_add_co_u32 v27, s0, v0, v27
	v_lshlrev_b64_e32 v[25:26], 3, v[25:26]
	s_delay_alu instid0(VALU_DEP_4) | instskip(NEXT) | instid1(VALU_DEP_4)
	v_mad_co_u64_u32 v[59:60], null, s18, v29, 0
	v_mad_co_u64_u32 v[31:32], null, s19, v32, v[23:24]
	v_dual_mov_b32 v23, v38 :: v_dual_add_nc_u32 v32, 0x360, v58
	s_wait_alu 0xf1ff
	v_add_co_ci_u32_e64 v28, s0, v24, v28, s0
	v_add_co_u32 v61, s0, v0, v25
	s_delay_alu instid0(VALU_DEP_3) | instskip(SKIP_4) | instid1(VALU_DEP_3)
	v_mad_co_u64_u32 v[63:64], null, s19, v35, v[23:24]
	v_mov_b32_e32 v23, v60
	v_mad_co_u64_u32 v[64:65], null, s18, v32, 0
	s_wait_alu 0xf1ff
	v_add_co_ci_u32_e64 v62, s0, v24, v26, s0
	v_mad_co_u64_u32 v[66:67], null, s19, v29, v[23:24]
	v_mad_co_u64_u32 v[67:68], null, s18, v69, 0
	s_delay_alu instid0(VALU_DEP_4)
	v_mov_b32_e32 v23, v65
	s_clause 0x3
	global_load_b64 v[35:36], v[19:20], off
	global_load_b64 v[25:26], v[21:22], off
	;; [unrolled: 1-line block ×4, first 2 shown]
	v_lshlrev_b64_e32 v[27:28], 3, v[30:31]
	v_mov_b32_e32 v38, v63
	v_mov_b32_e32 v60, v66
	v_mad_co_u64_u32 v[29:30], null, s19, v32, v[23:24]
	v_mov_b32_e32 v23, v68
	s_delay_alu instid0(VALU_DEP_4)
	v_lshlrev_b64_e32 v[30:31], 3, v[37:38]
	v_add_co_u32 v27, s0, v0, v27
	s_wait_alu 0xf1ff
	v_add_co_ci_u32_e64 v28, s0, v24, v28, s0
	v_mad_co_u64_u32 v[37:38], null, s19, v69, v[23:24]
	v_mov_b32_e32 v65, v29
	v_lshlrev_b64_e32 v[59:60], 3, v[59:60]
	v_add_co_u32 v29, s0, v0, v30
	s_wait_alu 0xf1ff
	v_add_co_ci_u32_e64 v30, s0, v24, v31, s0
	v_mov_b32_e32 v68, v37
	v_lshlrev_b64_e32 v[31:32], 3, v[64:65]
	v_add_co_u32 v59, s0, v0, v59
	s_wait_alu 0xf1ff
	v_add_co_ci_u32_e64 v60, s0, v24, v60, s0
	v_lshlrev_b64_e32 v[37:38], 3, v[67:68]
	s_delay_alu instid0(VALU_DEP_4) | instskip(SKIP_2) | instid1(VALU_DEP_3)
	v_add_co_u32 v61, s0, v0, v31
	s_wait_alu 0xf1ff
	v_add_co_ci_u32_e64 v62, s0, v24, v32, s0
	v_add_co_u32 v23, s0, v0, v37
	s_wait_alu 0xf1ff
	v_add_co_ci_u32_e64 v24, s0, v24, v38, s0
	s_clause 0x4
	global_load_b64 v[37:38], v[27:28], off
	global_load_b64 v[31:32], v[29:30], off
	;; [unrolled: 1-line block ×5, first 2 shown]
.LBB0_13:
	s_wait_alu 0xfffe
	s_or_b32 exec_lo, exec_lo, s4
.LBB0_14:
	s_delay_alu instid0(SALU_CYCLE_1) | instskip(SKIP_4) | instid1(VALU_DEP_3)
	s_or_b32 exec_lo, exec_lo, s1
	s_wait_loadcnt 0x0
	v_dual_add_f32 v0, v41, v49 :: v_dual_sub_f32 v61, v50, v54
	v_dual_add_f32 v60, v53, v49 :: v_dual_sub_f32 v63, v48, v56
	v_add_f32_e32 v62, v55, v47
	v_add_f32_e32 v0, v0, v47
	v_mul_hi_u32 v59, 0xaaaaaaab, v57
	s_delay_alu instid0(VALU_DEP_4) | instskip(SKIP_4) | instid1(VALU_DEP_4)
	v_mul_f32_e32 v67, 0xbeb58ec6, v60
	v_mul_f32_e32 v65, 0x3f116cb1, v60
	;; [unrolled: 1-line block ×3, first 2 shown]
	v_dual_add_f32 v0, v0, v33 :: v_dual_mul_f32 v69, 0x3f116cb1, v62
	v_mad_u32_u24 v94, v58, 52, 0
	v_fmamk_f32 v72, v61, 0x3f52af12, v65
	v_fmac_f32_e32 v65, 0xbf52af12, v61
	v_mul_f32_e32 v66, 0x3df6dbef, v60
	v_dual_add_f32 v0, v0, v43 :: v_dual_fmamk_f32 v71, v61, 0x3eedf032, v64
	v_lshrrev_b32_e32 v59, 1, v59
	s_delay_alu instid0(VALU_DEP_4) | instskip(NEXT) | instid1(VALU_DEP_4)
	v_add_f32_e32 v65, v65, v41
	v_fmamk_f32 v73, v61, 0x3f7e222b, v66
	v_mul_f32_e32 v68, 0xbf3f9e67, v60
	v_add_f32_e32 v0, v0, v17
	v_lshl_add_u32 v59, v59, 1, v59
	v_add_f32_e32 v71, v71, v41
	v_add_f32_e32 v73, v73, v41
	s_delay_alu instid0(VALU_DEP_4) | instskip(SKIP_3) | instid1(VALU_DEP_4)
	v_dual_fmamk_f32 v75, v61, 0x3f29c268, v68 :: v_dual_add_f32 v0, v0, v7
	v_mul_f32_e32 v70, 0xbeb58ec6, v62
	v_sub_nc_u32_e32 v57, v57, v59
	v_cmp_gt_u32_e64 s0, 36, v58
	v_dual_add_f32 v75, v75, v41 :: v_dual_fmamk_f32 v74, v61, 0x3f6f5d39, v67
	s_delay_alu instid0(VALU_DEP_4) | instskip(SKIP_4) | instid1(VALU_DEP_4)
	v_fmamk_f32 v77, v63, 0x3f6f5d39, v70
	v_dual_fmac_f32 v67, 0xbf6f5d39, v61 :: v_dual_add_f32 v0, v0, v11
	v_mul_f32_e32 v60, 0xbf788fa5, v60
	v_fmac_f32_e32 v70, 0xbf6f5d39, v63
	v_fmac_f32_e32 v66, 0xbf7e222b, v61
	v_add_f32_e32 v67, v67, v41
	v_add_f32_e32 v0, v39, v0
	v_fmamk_f32 v76, v61, 0x3e750f2a, v60
	v_dual_add_f32 v65, v65, v70 :: v_dual_add_f32 v74, v74, v41
	v_mul_f32_e32 v70, 0x3df6dbef, v62
	s_delay_alu instid0(VALU_DEP_4) | instskip(SKIP_2) | instid1(VALU_DEP_3)
	v_add_f32_e32 v0, v45, v0
	v_add_f32_e32 v72, v72, v41
	v_sub_f32_e32 v80, v8, v12
	v_add_f32_e32 v0, v51, v0
	s_delay_alu instid0(VALU_DEP_1) | instskip(NEXT) | instid1(VALU_DEP_1)
	v_dual_fmac_f32 v64, 0xbeedf032, v61 :: v_dual_add_f32 v59, v55, v0
	v_add_f32_e32 v64, v64, v41
	v_mul_u32_u24_e32 v0, 0x3cf, v57
	s_delay_alu instid0(VALU_DEP_3) | instskip(SKIP_4) | instid1(VALU_DEP_2)
	v_dual_add_f32 v78, v53, v59 :: v_dual_mul_f32 v59, 0xbf788fa5, v62
	v_fmac_f32_e32 v60, 0xbe750f2a, v61
	v_add_f32_e32 v66, v66, v41
	v_fmac_f32_e32 v68, 0xbf29c268, v61
	v_fmamk_f32 v61, v63, 0x3f52af12, v69
	v_dual_fmac_f32 v69, 0xbf52af12, v63 :: v_dual_add_f32 v68, v68, v41
	s_delay_alu instid0(VALU_DEP_2) | instskip(SKIP_2) | instid1(VALU_DEP_4)
	v_add_f32_e32 v57, v71, v61
	v_add_f32_e32 v76, v76, v41
	v_add_f32_e32 v41, v60, v41
	v_add_f32_e32 v60, v64, v69
	v_mul_f32_e32 v64, 0xbf3f9e67, v62
	v_fmamk_f32 v69, v63, 0x3e750f2a, v59
	v_fmac_f32_e32 v59, 0xbe750f2a, v63
	v_dual_add_f32 v61, v72, v77 :: v_dual_mul_f32 v62, 0x3f62ad3f, v62
	s_delay_alu instid0(VALU_DEP_4) | instskip(NEXT) | instid1(VALU_DEP_4)
	v_fmamk_f32 v71, v63, 0xbf29c268, v64
	v_add_f32_e32 v69, v73, v69
	s_delay_alu instid0(VALU_DEP_4) | instskip(SKIP_1) | instid1(VALU_DEP_4)
	v_add_f32_e32 v59, v66, v59
	v_sub_f32_e32 v72, v34, v52
	v_dual_fmamk_f32 v66, v63, 0xbf7e222b, v70 :: v_dual_add_f32 v71, v74, v71
	v_fmac_f32_e32 v70, 0x3f7e222b, v63
	v_fmac_f32_e32 v64, 0x3f29c268, v63
	v_fmamk_f32 v74, v63, 0xbeedf032, v62
	v_fmac_f32_e32 v62, 0x3eedf032, v63
	v_add_f32_e32 v77, v11, v7
	s_delay_alu instid0(VALU_DEP_4) | instskip(SKIP_1) | instid1(VALU_DEP_1)
	v_dual_add_f32 v63, v68, v70 :: v_dual_add_f32 v64, v67, v64
	v_add_f32_e32 v67, v51, v33
	v_dual_add_f32 v41, v41, v62 :: v_dual_mul_f32 v68, 0xbf788fa5, v67
	v_mul_f32_e32 v73, 0x3df6dbef, v67
	s_delay_alu instid0(VALU_DEP_2) | instskip(NEXT) | instid1(VALU_DEP_1)
	v_fmamk_f32 v62, v72, 0x3e750f2a, v68
	v_dual_fmac_f32 v68, 0xbe750f2a, v72 :: v_dual_add_f32 v61, v61, v62
	s_delay_alu instid0(VALU_DEP_1) | instskip(NEXT) | instid1(VALU_DEP_1)
	v_dual_fmamk_f32 v70, v72, 0x3f7e222b, v73 :: v_dual_add_f32 v65, v65, v68
	v_dual_mul_f32 v62, 0x3f62ad3f, v67 :: v_dual_add_f32 v57, v57, v70
	v_mul_f32_e32 v70, 0xbeb58ec6, v67
	s_delay_alu instid0(VALU_DEP_1) | instskip(SKIP_1) | instid1(VALU_DEP_1)
	v_fmamk_f32 v68, v72, 0xbf6f5d39, v70
	v_fmac_f32_e32 v70, 0x3f6f5d39, v72
	v_dual_add_f32 v68, v69, v68 :: v_dual_add_f32 v59, v59, v70
	v_dual_fmac_f32 v73, 0xbf7e222b, v72 :: v_dual_add_f32 v66, v75, v66
	v_fmamk_f32 v75, v72, 0xbeedf032, v62
	s_delay_alu instid0(VALU_DEP_2) | instskip(NEXT) | instid1(VALU_DEP_2)
	v_dual_add_f32 v60, v60, v73 :: v_dual_mul_f32 v73, 0x3f116cb1, v67
	v_add_f32_e32 v70, v71, v75
	v_mul_f32_e32 v67, 0xbf3f9e67, v67
	s_delay_alu instid0(VALU_DEP_3) | instskip(SKIP_1) | instid1(VALU_DEP_3)
	v_fmamk_f32 v69, v72, 0x3f52af12, v73
	v_fmac_f32_e32 v73, 0xbf52af12, v72
	v_fmamk_f32 v75, v72, 0x3f29c268, v67
	s_delay_alu instid0(VALU_DEP_3) | instskip(SKIP_1) | instid1(VALU_DEP_4)
	v_dual_fmac_f32 v67, 0xbf29c268, v72 :: v_dual_add_f32 v66, v66, v69
	v_dual_sub_f32 v69, v44, v46 :: v_dual_fmac_f32 v62, 0x3eedf032, v72
	v_dual_add_f32 v74, v76, v74 :: v_dual_add_f32 v63, v63, v73
	s_delay_alu instid0(VALU_DEP_3) | instskip(NEXT) | instid1(VALU_DEP_3)
	v_dual_add_f32 v41, v41, v67 :: v_dual_sub_f32 v76, v14, v28
	v_add_f32_e32 v62, v64, v62
	v_add_f32_e32 v64, v45, v43
	s_delay_alu instid0(VALU_DEP_1) | instskip(SKIP_1) | instid1(VALU_DEP_2)
	v_dual_add_f32 v74, v74, v75 :: v_dual_mul_f32 v71, 0xbeb58ec6, v64
	v_mul_f32_e32 v72, 0xbf3f9e67, v64
	v_fmamk_f32 v73, v69, 0x3f6f5d39, v71
	v_fmac_f32_e32 v71, 0xbf6f5d39, v69
	s_delay_alu instid0(VALU_DEP_3) | instskip(NEXT) | instid1(VALU_DEP_3)
	v_fmamk_f32 v67, v69, 0xbf29c268, v72
	v_add_f32_e32 v57, v57, v73
	s_delay_alu instid0(VALU_DEP_3) | instskip(NEXT) | instid1(VALU_DEP_3)
	v_dual_mul_f32 v73, 0x3f62ad3f, v64 :: v_dual_add_f32 v60, v60, v71
	v_add_f32_e32 v61, v61, v67
	v_mul_f32_e32 v67, 0x3df6dbef, v64
	s_delay_alu instid0(VALU_DEP_3) | instskip(SKIP_1) | instid1(VALU_DEP_2)
	v_fmamk_f32 v71, v69, 0xbeedf032, v73
	v_fmac_f32_e32 v73, 0x3eedf032, v69
	v_dual_fmamk_f32 v75, v69, 0x3f7e222b, v67 :: v_dual_add_f32 v68, v68, v71
	v_fmac_f32_e32 v67, 0xbf7e222b, v69
	s_delay_alu instid0(VALU_DEP_2) | instskip(NEXT) | instid1(VALU_DEP_2)
	v_dual_add_f32 v59, v59, v73 :: v_dual_add_f32 v70, v70, v75
	v_dual_add_f32 v62, v62, v67 :: v_dual_add_f32 v67, v39, v17
	s_delay_alu instid0(VALU_DEP_1) | instskip(SKIP_1) | instid1(VALU_DEP_1)
	v_mul_f32_e32 v73, 0xbf3f9e67, v67
	v_fmac_f32_e32 v72, 0x3f29c268, v69
	v_add_f32_e32 v65, v65, v72
	v_mul_f32_e32 v72, 0xbf788fa5, v64
	v_mul_f32_e32 v64, 0x3f116cb1, v64
	s_delay_alu instid0(VALU_DEP_1) | instskip(NEXT) | instid1(VALU_DEP_3)
	v_fmamk_f32 v75, v69, 0xbf52af12, v64
	v_fmamk_f32 v71, v69, 0xbe750f2a, v72
	v_fmac_f32_e32 v64, 0x3f52af12, v69
	v_fmac_f32_e32 v72, 0x3e750f2a, v69
	s_delay_alu instid0(VALU_DEP_2) | instskip(NEXT) | instid1(VALU_DEP_2)
	v_dual_add_f32 v74, v74, v75 :: v_dual_add_f32 v41, v41, v64
	v_dual_add_f32 v66, v66, v71 :: v_dual_add_f32 v63, v63, v72
	v_sub_f32_e32 v71, v18, v40
	s_delay_alu instid0(VALU_DEP_1) | instskip(SKIP_1) | instid1(VALU_DEP_1)
	v_fmamk_f32 v72, v71, 0x3f29c268, v73
	v_fmac_f32_e32 v73, 0xbf29c268, v71
	v_dual_mul_f32 v69, 0x3df6dbef, v67 :: v_dual_add_f32 v60, v60, v73
	s_delay_alu instid0(VALU_DEP_1) | instskip(NEXT) | instid1(VALU_DEP_1)
	v_fmamk_f32 v64, v71, 0xbf7e222b, v69
	v_dual_add_f32 v61, v61, v64 :: v_dual_mul_f32 v64, 0xbf788fa5, v67
	v_add_f32_e32 v57, v57, v72
	s_delay_alu instid0(VALU_DEP_2) | instskip(SKIP_2) | instid1(VALU_DEP_3)
	v_fmamk_f32 v75, v71, 0xbe750f2a, v64
	v_fmac_f32_e32 v64, 0x3e750f2a, v71
	v_mul_f32_e32 v72, 0x3f116cb1, v67
	v_dual_add_f32 v70, v70, v75 :: v_dual_sub_f32 v75, v16, v24
	s_delay_alu instid0(VALU_DEP_2) | instskip(NEXT) | instid1(VALU_DEP_1)
	v_fmamk_f32 v73, v71, 0x3f52af12, v72
	v_dual_fmac_f32 v69, 0x3f7e222b, v71 :: v_dual_add_f32 v68, v68, v73
	s_delay_alu instid0(VALU_DEP_1) | instskip(SKIP_4) | instid1(VALU_DEP_3)
	v_add_f32_e32 v65, v65, v69
	v_mul_f32_e32 v69, 0x3f62ad3f, v67
	v_dual_add_f32 v73, v62, v64 :: v_dual_fmac_f32 v72, 0xbf52af12, v71
	v_mul_f32_e32 v67, 0xbeb58ec6, v67
	v_mul_f32_e32 v62, 0xbf788fa5, v77
	v_add_f32_e32 v72, v59, v72
	v_fmamk_f32 v59, v71, 0xbeedf032, v69
	v_fmac_f32_e32 v69, 0x3eedf032, v71
	s_delay_alu instid0(VALU_DEP_2) | instskip(SKIP_1) | instid1(VALU_DEP_1)
	v_add_f32_e32 v79, v66, v59
	v_fmamk_f32 v59, v71, 0x3f6f5d39, v67
	v_dual_add_f32 v81, v63, v69 :: v_dual_add_f32 v82, v74, v59
	v_fmamk_f32 v59, v80, 0x3e750f2a, v62
	v_mul_f32_e32 v63, 0x3f62ad3f, v77
	v_fmac_f32_e32 v62, 0xbe750f2a, v80
	v_sub_f32_e32 v74, v36, v32
	s_delay_alu instid0(VALU_DEP_4) | instskip(NEXT) | instid1(VALU_DEP_3)
	v_dual_add_f32 v84, v57, v59 :: v_dual_mul_f32 v57, 0xbf3f9e67, v77
	v_add_f32_e32 v85, v60, v62
	s_delay_alu instid0(VALU_DEP_2) | instskip(SKIP_1) | instid1(VALU_DEP_2)
	v_fmamk_f32 v60, v80, 0x3f29c268, v57
	v_fmac_f32_e32 v57, 0xbf29c268, v80
	v_dual_add_f32 v88, v68, v60 :: v_dual_fmac_f32 v67, 0xbf6f5d39, v71
	s_delay_alu instid0(VALU_DEP_2) | instskip(SKIP_1) | instid1(VALU_DEP_3)
	v_dual_add_f32 v89, v72, v57 :: v_dual_sub_f32 v72, v10, v30
	v_sub_f32_e32 v71, v22, v20
	v_add_f32_e32 v83, v41, v67
	v_fmamk_f32 v41, v80, 0xbeedf032, v63
	v_mul_f32_e32 v67, 0x3f116cb1, v77
	s_delay_alu instid0(VALU_DEP_2) | instskip(NEXT) | instid1(VALU_DEP_2)
	v_dual_fmac_f32 v63, 0x3eedf032, v80 :: v_dual_add_f32 v86, v61, v41
	v_dual_add_f32 v41, v15, v23 :: v_dual_fmamk_f32 v60, v80, 0xbf52af12, v67
	v_add_f32_e32 v61, v13, v27
	s_delay_alu instid0(VALU_DEP_3) | instskip(SKIP_1) | instid1(VALU_DEP_4)
	v_add_f32_e32 v87, v65, v63
	v_add_f32_e32 v65, v35, v31
	v_dual_mul_f32 v59, 0x3f62ad3f, v41 :: v_dual_add_f32 v90, v70, v60
	s_delay_alu instid0(VALU_DEP_4) | instskip(SKIP_2) | instid1(VALU_DEP_4)
	v_mul_f32_e32 v62, 0x3f116cb1, v61
	v_add_f32_e32 v63, v9, v29
	v_fmac_f32_e32 v67, 0x3f52af12, v80
	v_fmamk_f32 v57, v75, 0xbeedf032, v59
	s_delay_alu instid0(VALU_DEP_4) | instskip(NEXT) | instid1(VALU_DEP_4)
	v_fmamk_f32 v66, v76, 0xbf52af12, v62
	v_mul_f32_e32 v64, 0x3df6dbef, v63
	s_delay_alu instid0(VALU_DEP_4) | instskip(NEXT) | instid1(VALU_DEP_4)
	v_add_f32_e32 v91, v73, v67
	v_add_f32_e32 v57, v5, v57
	v_mul_f32_e32 v60, 0xbeb58ec6, v77
	v_mul_f32_e32 v77, 0x3df6dbef, v77
	v_fmamk_f32 v69, v72, 0xbf7e222b, v64
	s_delay_alu instid0(VALU_DEP_3) | instskip(SKIP_2) | instid1(VALU_DEP_3)
	v_dual_add_f32 v57, v57, v66 :: v_dual_fmamk_f32 v68, v80, 0x3f6f5d39, v60
	v_mul_f32_e32 v66, 0xbeb58ec6, v65
	v_dual_add_f32 v67, v25, v37 :: v_dual_fmac_f32 v60, 0xbf6f5d39, v80
	v_add_f32_e32 v57, v57, v69
	s_delay_alu instid0(VALU_DEP_3) | instskip(NEXT) | instid1(VALU_DEP_3)
	v_dual_add_f32 v69, v21, v19 :: v_dual_fmamk_f32 v70, v74, 0xbf6f5d39, v66
	v_dual_add_f32 v79, v79, v68 :: v_dual_mul_f32 v68, 0xbf3f9e67, v67
	v_sub_f32_e32 v73, v26, v38
	v_fmamk_f32 v93, v80, 0xbf7e222b, v77
	s_delay_alu instid0(VALU_DEP_4) | instskip(SKIP_1) | instid1(VALU_DEP_4)
	v_dual_add_f32 v57, v57, v70 :: v_dual_mul_f32 v70, 0xbf788fa5, v69
	v_fmac_f32_e32 v77, 0x3f7e222b, v80
	v_fmamk_f32 v92, v73, 0xbf29c268, v68
	v_add_f32_e32 v81, v81, v60
	v_lshl_add_u32 v60, v0, 2, v94
	v_fmamk_f32 v80, v71, 0xbe750f2a, v70
	s_delay_alu instid0(VALU_DEP_4)
	v_dual_add_f32 v82, v82, v93 :: v_dual_add_f32 v57, v57, v92
	v_add_f32_e32 v77, v83, v77
	ds_store_2addr_b32 v60, v78, v84 offset1:1
	ds_store_2addr_b32 v60, v86, v88 offset0:2 offset1:3
	ds_store_2addr_b32 v60, v90, v79 offset0:4 offset1:5
	;; [unrolled: 1-line block ×5, first 2 shown]
	ds_store_b32 v60, v85 offset:48
	v_add_f32_e32 v57, v57, v80
	s_and_saveexec_b32 s1, s0
	s_cbranch_execz .LBB0_16
; %bb.15:
	v_mul_f32_e32 v77, 0xbe750f2a, v75
	v_dual_mul_f32 v84, 0xbf29c268, v73 :: v_dual_mul_f32 v85, 0xbf29c268, v72
	v_mul_f32_e32 v83, 0xbf6f5d39, v74
	v_mul_f32_e32 v96, 0x3f6f5d39, v72
	s_delay_alu instid0(VALU_DEP_4) | instskip(NEXT) | instid1(VALU_DEP_4)
	v_fmamk_f32 v82, v41, 0xbf788fa5, v77
	v_fmamk_f32 v89, v63, 0xbf3f9e67, v85
	v_mul_f32_e32 v81, 0x3eedf032, v76
	v_fma_f32 v85, 0xbf3f9e67, v63, -v85
	v_mul_f32_e32 v88, 0x3f52af12, v74
	v_add_f32_e32 v82, v5, v82
	v_fma_f32 v77, 0xbf788fa5, v41, -v77
	v_mul_f32_e32 v78, 0xbeedf032, v75
	s_delay_alu instid0(VALU_DEP_4) | instskip(SKIP_4) | instid1(VALU_DEP_4)
	v_fmamk_f32 v90, v65, 0x3f116cb1, v88
	v_fmamk_f32 v86, v61, 0x3f62ad3f, v81
	v_mul_f32_e32 v79, 0xbf52af12, v76
	v_add_f32_e32 v77, v5, v77
	v_sub_f32_e32 v59, v59, v78
	v_add_f32_e32 v82, v82, v86
	v_mul_f32_e32 v86, 0xbf6f5d39, v73
	s_delay_alu instid0(VALU_DEP_2) | instskip(SKIP_4) | instid1(VALU_DEP_4)
	v_add_f32_e32 v82, v82, v89
	v_fma_f32 v81, 0x3f62ad3f, v61, -v81
	v_mul_f32_e32 v89, 0xbf29c268, v75
	v_mul_f32_e32 v80, 0xbf7e222b, v72
	v_fmamk_f32 v91, v67, 0xbeb58ec6, v86
	v_add_f32_e32 v77, v77, v81
	s_delay_alu instid0(VALU_DEP_4) | instskip(SKIP_2) | instid1(VALU_DEP_4)
	v_dual_add_f32 v81, v82, v90 :: v_dual_fmamk_f32 v90, v41, 0xbf3f9e67, v89
	v_mul_f32_e32 v92, 0x3f7e222b, v76
	v_mul_f32_e32 v87, 0xbe750f2a, v71
	v_add_f32_e32 v77, v77, v85
	s_delay_alu instid0(VALU_DEP_4) | instskip(SKIP_4) | instid1(VALU_DEP_4)
	v_add_f32_e32 v81, v81, v91
	v_fma_f32 v85, 0x3f116cb1, v65, -v88
	v_add_f32_e32 v88, v5, v90
	v_fmamk_f32 v90, v61, 0x3df6dbef, v92
	v_mul_f32_e32 v91, 0xbf52af12, v72
	v_dual_mul_f32 v82, 0x3f7e222b, v71 :: v_dual_add_f32 v77, v77, v85
	v_fma_f32 v85, 0xbeb58ec6, v67, -v86
	s_delay_alu instid0(VALU_DEP_4) | instskip(NEXT) | instid1(VALU_DEP_4)
	v_add_f32_e32 v86, v88, v90
	v_fmamk_f32 v88, v63, 0x3f116cb1, v91
	v_mul_f32_e32 v90, 0x3e750f2a, v74
	v_fma_f32 v92, 0x3df6dbef, v61, -v92
	s_delay_alu instid0(VALU_DEP_3) | instskip(SKIP_1) | instid1(VALU_DEP_4)
	v_dual_add_f32 v77, v77, v85 :: v_dual_add_f32 v86, v86, v88
	v_fma_f32 v85, 0xbf3f9e67, v41, -v89
	v_fmamk_f32 v88, v65, 0xbf788fa5, v90
	s_delay_alu instid0(VALU_DEP_2) | instskip(NEXT) | instid1(VALU_DEP_2)
	v_add_f32_e32 v85, v5, v85
	v_dual_mul_f32 v89, 0x3eedf032, v73 :: v_dual_add_f32 v86, v86, v88
	s_delay_alu instid0(VALU_DEP_1) | instskip(SKIP_2) | instid1(VALU_DEP_2)
	v_fmamk_f32 v88, v67, 0x3f62ad3f, v89
	v_fmamk_f32 v93, v69, 0x3df6dbef, v82
	v_fma_f32 v82, 0x3df6dbef, v69, -v82
	v_dual_add_f32 v86, v86, v88 :: v_dual_add_f32 v81, v81, v93
	v_mul_f32_e32 v93, 0xbf6f5d39, v75
	s_delay_alu instid0(VALU_DEP_3) | instskip(SKIP_4) | instid1(VALU_DEP_2)
	v_add_f32_e32 v77, v77, v82
	v_add_f32_e32 v82, v85, v92
	v_mul_f32_e32 v92, 0xbf6f5d39, v71
	v_fma_f32 v85, 0x3f116cb1, v63, -v91
	v_fmamk_f32 v88, v41, 0xbeb58ec6, v93
	v_add_f32_e32 v82, v82, v85
	v_fma_f32 v85, 0xbf788fa5, v65, -v90
	v_mul_f32_e32 v91, 0x3f29c268, v76
	s_delay_alu instid0(VALU_DEP_4) | instskip(NEXT) | instid1(VALU_DEP_3)
	v_add_f32_e32 v88, v5, v88
	v_add_f32_e32 v82, v82, v85
	s_delay_alu instid0(VALU_DEP_3)
	v_fmamk_f32 v90, v61, 0xbf3f9e67, v91
	v_fma_f32 v85, 0x3f62ad3f, v67, -v89
	v_fmamk_f32 v95, v69, 0xbeb58ec6, v92
	v_fma_f32 v92, 0xbeb58ec6, v69, -v92
	v_fma_f32 v91, 0xbf3f9e67, v61, -v91
	v_add_f32_e32 v88, v88, v90
	v_mul_f32_e32 v90, 0xbf7e222b, v74
	v_add_f32_e32 v82, v82, v85
	v_fma_f32 v85, 0xbeb58ec6, v41, -v93
	v_mul_f32_e32 v94, 0x3eedf032, v72
	v_add_f32_e32 v86, v86, v95
	v_mul_f32_e32 v95, 0xbf7e222b, v75
	s_delay_alu instid0(VALU_DEP_4) | instskip(NEXT) | instid1(VALU_DEP_4)
	v_dual_mul_f32 v72, 0xbe750f2a, v72 :: v_dual_add_f32 v85, v5, v85
	v_fmamk_f32 v89, v63, 0x3f62ad3f, v94
	s_delay_alu instid0(VALU_DEP_1) | instskip(SKIP_4) | instid1(VALU_DEP_3)
	v_dual_add_f32 v85, v85, v91 :: v_dual_add_f32 v88, v88, v89
	v_fmamk_f32 v89, v65, 0x3df6dbef, v90
	v_dual_mul_f32 v93, 0x3e750f2a, v73 :: v_dual_add_f32 v82, v82, v92
	v_fma_f32 v91, 0x3f62ad3f, v63, -v94
	v_fma_f32 v90, 0x3df6dbef, v65, -v90
	v_dual_add_f32 v88, v88, v89 :: v_dual_fmamk_f32 v89, v67, 0xbf788fa5, v93
	s_delay_alu instid0(VALU_DEP_3) | instskip(SKIP_1) | instid1(VALU_DEP_3)
	v_add_f32_e32 v85, v85, v91
	v_mul_f32_e32 v94, 0x3f52af12, v71
	v_dual_add_f32 v88, v88, v89 :: v_dual_fmamk_f32 v89, v41, 0x3df6dbef, v95
	s_delay_alu instid0(VALU_DEP_3) | instskip(SKIP_2) | instid1(VALU_DEP_4)
	v_add_f32_e32 v85, v85, v90
	v_fma_f32 v90, 0xbf788fa5, v67, -v93
	v_mul_f32_e32 v92, 0xbe750f2a, v76
	v_dual_mul_f32 v76, 0xbf6f5d39, v76 :: v_dual_add_f32 v89, v5, v89
	s_delay_alu instid0(VALU_DEP_3) | instskip(SKIP_2) | instid1(VALU_DEP_2)
	v_add_f32_e32 v85, v85, v90
	v_fma_f32 v90, 0x3df6dbef, v41, -v95
	v_mul_f32_e32 v95, 0xbf52af12, v73
	v_dual_mul_f32 v73, 0x3f7e222b, v73 :: v_dual_add_f32 v90, v5, v90
	v_fmamk_f32 v97, v69, 0x3f116cb1, v94
	v_fmamk_f32 v91, v61, 0xbf788fa5, v92
	v_fma_f32 v92, 0xbf788fa5, v61, -v92
	v_fma_f32 v94, 0x3f116cb1, v69, -v94
	s_delay_alu instid0(VALU_DEP_2) | instskip(NEXT) | instid1(VALU_DEP_4)
	v_add_f32_e32 v90, v90, v92
	v_dual_add_f32 v88, v88, v97 :: v_dual_add_f32 v89, v89, v91
	v_fmamk_f32 v91, v63, 0xbeb58ec6, v96
	v_fma_f32 v92, 0xbeb58ec6, v63, -v96
	v_dual_mul_f32 v93, 0x3eedf032, v74 :: v_dual_add_f32 v96, v5, v15
	v_dual_add_f32 v85, v85, v94 :: v_dual_mul_f32 v94, 0xbf29c268, v71
	s_delay_alu instid0(VALU_DEP_3) | instskip(NEXT) | instid1(VALU_DEP_3)
	v_dual_add_f32 v89, v89, v91 :: v_dual_add_f32 v90, v90, v92
	v_fma_f32 v92, 0x3f62ad3f, v65, -v93
	v_fmamk_f32 v91, v65, 0x3f62ad3f, v93
	v_mul_f32_e32 v74, 0x3f29c268, v74
	s_delay_alu instid0(VALU_DEP_2) | instskip(SKIP_3) | instid1(VALU_DEP_3)
	v_dual_add_f32 v90, v90, v92 :: v_dual_add_f32 v89, v89, v91
	v_dual_add_f32 v92, v96, v13 :: v_dual_fmamk_f32 v91, v67, 0x3f116cb1, v95
	v_mul_f32_e32 v75, 0xbf52af12, v75
	v_fma_f32 v95, 0x3f116cb1, v67, -v95
	v_dual_add_f32 v92, v92, v9 :: v_dual_add_f32 v89, v89, v91
	s_delay_alu instid0(VALU_DEP_2) | instskip(NEXT) | instid1(VALU_DEP_2)
	v_dual_fmamk_f32 v91, v41, 0x3f116cb1, v75 :: v_dual_add_f32 v90, v90, v95
	v_dual_fmamk_f32 v93, v61, 0xbeb58ec6, v76 :: v_dual_add_f32 v92, v92, v35
	v_fma_f32 v41, 0x3f116cb1, v41, -v75
	s_delay_alu instid0(VALU_DEP_3) | instskip(SKIP_1) | instid1(VALU_DEP_4)
	v_add_f32_e32 v91, v5, v91
	v_fma_f32 v61, 0xbeb58ec6, v61, -v76
	v_dual_add_f32 v78, v92, v25 :: v_dual_fmamk_f32 v97, v69, 0xbf3f9e67, v94
	s_delay_alu instid0(VALU_DEP_3)
	v_add_f32_e32 v91, v91, v93
	v_fmamk_f32 v93, v63, 0xbf788fa5, v72
	v_add_f32_e32 v41, v5, v41
	v_add_f32_e32 v5, v5, v59
	v_sub_f32_e32 v59, v62, v79
	v_add_f32_e32 v62, v78, v21
	v_add_f32_e32 v91, v91, v93
	v_fmamk_f32 v93, v65, 0xbf3f9e67, v74
	v_fma_f32 v94, 0xbf3f9e67, v69, -v94
	v_add_f32_e32 v5, v5, v59
	v_dual_add_f32 v59, v62, v19 :: v_dual_sub_f32 v62, v64, v80
	v_dual_mul_f32 v64, 0x3eedf032, v71 :: v_dual_add_f32 v41, v41, v61
	v_fma_f32 v61, 0xbf788fa5, v63, -v72
	v_add_f32_e32 v75, v91, v93
	s_delay_alu instid0(VALU_DEP_4) | instskip(SKIP_2) | instid1(VALU_DEP_3)
	v_dual_add_f32 v5, v5, v62 :: v_dual_sub_f32 v62, v66, v83
	v_dual_add_f32 v59, v37, v59 :: v_dual_add_nc_u32 v66, 0x804, v60
	v_dual_add_f32 v89, v89, v97 :: v_dual_fmamk_f32 v76, v67, 0x3df6dbef, v73
	v_dual_add_f32 v5, v5, v62 :: v_dual_sub_f32 v62, v68, v84
	s_delay_alu instid0(VALU_DEP_3) | instskip(NEXT) | instid1(VALU_DEP_3)
	v_dual_add_f32 v59, v31, v59 :: v_dual_add_nc_u32 v68, 0x814, v60
	v_add_f32_e32 v63, v75, v76
	s_delay_alu instid0(VALU_DEP_3)
	v_dual_add_f32 v5, v5, v62 :: v_dual_sub_f32 v62, v70, v87
	v_add_f32_e32 v41, v41, v61
	v_fma_f32 v61, 0xbf3f9e67, v65, -v74
	v_add_f32_e32 v59, v29, v59
	v_fmamk_f32 v65, v69, 0x3f62ad3f, v64
	v_dual_add_f32 v5, v5, v62 :: v_dual_add_nc_u32 v62, 0x7f4, v60
	s_delay_alu instid0(VALU_DEP_4)
	v_add_f32_e32 v41, v41, v61
	v_fma_f32 v61, 0x3df6dbef, v67, -v73
	v_add_f32_e32 v59, v27, v59
	v_add_f32_e32 v63, v63, v65
	v_add_nc_u32_e32 v65, 0x7fc, v60
	v_add_nc_u32_e32 v67, 0x80c, v60
	v_add_f32_e32 v41, v41, v61
	v_fma_f32 v61, 0x3f62ad3f, v69, -v64
	v_dual_add_f32 v64, v90, v94 :: v_dual_add_f32 v59, v23, v59
	s_delay_alu instid0(VALU_DEP_2)
	v_add_f32_e32 v41, v41, v61
	v_add_nc_u32_e32 v61, 0x7ec, v60
	ds_store_2addr_b32 v62, v41, v64 offset1:1
	ds_store_2addr_b32 v65, v85, v82 offset1:1
	;; [unrolled: 1-line block ×6, first 2 shown]
	ds_store_b32 v60, v57 offset:2076
.LBB0_16:
	s_wait_alu 0xfffe
	s_or_b32 exec_lo, exec_lo, s1
	v_add_f32_e32 v5, v42, v50
	v_sub_f32_e32 v47, v47, v55
	v_sub_f32_e32 v41, v49, v53
	;; [unrolled: 1-line block ×5, first 2 shown]
	v_dual_mul_f32 v62, 0xbf52af12, v47 :: v_dual_add_f32 v49, v54, v50
	v_add_f32_e32 v50, v56, v48
	v_dual_add_f32 v5, v5, v48 :: v_dual_mul_f32 v48, 0xbeedf032, v41
	v_mul_f32_e32 v59, 0xbf6f5d39, v41
	v_mul_f32_e32 v61, 0xbf29c268, v41
	v_sub_f32_e32 v73, v15, v23
	global_wb scope:SCOPE_SE
	s_wait_dscnt 0x0
	v_fmamk_f32 v65, v49, 0x3f62ad3f, v48
	v_fma_f32 v48, 0x3f62ad3f, v49, -v48
	v_mul_f32_e32 v53, 0xbf52af12, v41
	v_fmamk_f32 v68, v49, 0xbeb58ec6, v59
	s_wait_kmcnt 0x0
	s_barrier_signal -1
	s_barrier_wait -1
	v_add_f32_e32 v48, v48, v42
	v_fmamk_f32 v66, v49, 0x3f116cb1, v53
	v_mul_f32_e32 v55, 0xbf7e222b, v41
	v_dual_mul_f32 v41, 0xbe750f2a, v41 :: v_dual_mul_f32 v64, 0xbe750f2a, v47
	v_add_f32_e32 v5, v5, v34
	v_fma_f32 v53, 0x3f116cb1, v49, -v53
	v_add_f32_e32 v66, v66, v42
	s_delay_alu instid0(VALU_DEP_4) | instskip(SKIP_3) | instid1(VALU_DEP_4)
	v_fmamk_f32 v70, v49, 0xbf788fa5, v41
	v_dual_fmamk_f32 v67, v49, 0x3df6dbef, v55 :: v_dual_add_f32 v34, v52, v34
	v_add_f32_e32 v5, v5, v44
	v_fma_f32 v55, 0x3df6dbef, v49, -v55
	v_dual_add_f32 v70, v70, v42 :: v_dual_fmamk_f32 v69, v49, 0xbf3f9e67, v61
	v_fma_f32 v61, 0xbf3f9e67, v49, -v61
	v_fma_f32 v41, 0xbf788fa5, v49, -v41
	v_add_f32_e32 v68, v68, v42
	v_fma_f32 v59, 0xbeb58ec6, v49, -v59
	v_add_f32_e32 v67, v67, v42
	v_add_f32_e32 v61, v61, v42
	v_fmamk_f32 v49, v50, 0x3f116cb1, v62
	v_fma_f32 v62, 0x3f116cb1, v50, -v62
	v_add_f32_e32 v55, v55, v42
	v_add_f32_e32 v53, v53, v42
	v_dual_add_f32 v59, v59, v42 :: v_dual_add_f32 v44, v46, v44
	s_delay_alu instid0(VALU_DEP_4)
	v_add_f32_e32 v48, v48, v62
	v_dual_mul_f32 v62, 0x3f7e222b, v47 :: v_dual_add_f32 v5, v5, v18
	v_dual_add_f32 v18, v40, v18 :: v_dual_sub_f32 v43, v43, v45
	v_add_f32_e32 v69, v69, v42
	global_inv scope:SCOPE_SE
	v_add_f32_e32 v5, v5, v8
	v_dual_add_f32 v8, v12, v8 :: v_dual_mul_f32 v39, 0x3f52af12, v43
	s_delay_alu instid0(VALU_DEP_2) | instskip(NEXT) | instid1(VALU_DEP_1)
	v_dual_mul_f32 v72, 0xbeedf032, v73 :: v_dual_add_f32 v5, v5, v12
	v_dual_mul_f32 v12, 0xbe750f2a, v7 :: v_dual_add_f32 v5, v40, v5
	v_mul_f32_e32 v40, 0xbf29c268, v17
	s_delay_alu instid0(VALU_DEP_2) | instskip(SKIP_1) | instid1(VALU_DEP_2)
	v_dual_add_f32 v5, v46, v5 :: v_dual_mul_f32 v46, 0xbf6f5d39, v43
	v_add_f32_e32 v41, v41, v42
	v_add_f32_e32 v5, v52, v5
	v_mul_f32_e32 v52, 0xbf7e222b, v33
	s_delay_alu instid0(VALU_DEP_2) | instskip(SKIP_1) | instid1(VALU_DEP_2)
	v_add_f32_e32 v5, v56, v5
	v_fma_f32 v56, 0xbf788fa5, v50, -v64
	v_dual_add_f32 v74, v54, v5 :: v_dual_add_f32 v65, v65, v42
	v_mul_f32_e32 v63, 0xbf6f5d39, v47
	v_mul_f32_e32 v5, 0x3f29c268, v47
	s_delay_alu instid0(VALU_DEP_4) | instskip(NEXT) | instid1(VALU_DEP_3)
	v_dual_add_f32 v55, v55, v56 :: v_dual_fmamk_f32 v56, v50, 0x3df6dbef, v62
	v_dual_add_f32 v42, v65, v49 :: v_dual_fmamk_f32 v71, v50, 0xbeb58ec6, v63
	v_fma_f32 v63, 0xbeb58ec6, v50, -v63
	v_mul_f32_e32 v47, 0x3eedf032, v47
	s_delay_alu instid0(VALU_DEP_4) | instskip(SKIP_1) | instid1(VALU_DEP_4)
	v_add_f32_e32 v51, v69, v56
	v_fma_f32 v56, 0x3df6dbef, v50, -v62
	v_dual_fmamk_f32 v54, v50, 0xbf788fa5, v64 :: v_dual_add_f32 v53, v53, v63
	v_fmamk_f32 v63, v50, 0xbf3f9e67, v5
	v_fma_f32 v5, 0xbf3f9e67, v50, -v5
	v_add_f32_e32 v49, v66, v71
	v_dual_add_f32 v64, v10, v30 :: v_dual_sub_f32 v65, v9, v29
	v_sub_f32_e32 v29, v25, v37
	s_delay_alu instid0(VALU_DEP_4)
	v_add_f32_e32 v5, v59, v5
	v_fmamk_f32 v59, v50, 0x3f62ad3f, v47
	v_fma_f32 v47, 0x3f62ad3f, v50, -v47
	v_add_f32_e32 v50, v61, v56
	v_mul_f32_e32 v56, 0xbe750f2a, v33
	v_fmamk_f32 v61, v34, 0x3df6dbef, v52
	v_mul_f32_e32 v69, 0xbf7e222b, v65
	v_add_f32_e32 v41, v41, v47
	v_fma_f32 v47, 0x3df6dbef, v34, -v52
	v_fmamk_f32 v52, v34, 0xbf788fa5, v56
	v_add_f32_e32 v42, v42, v61
	v_fma_f32 v56, 0xbf788fa5, v34, -v56
	v_mul_f32_e32 v61, 0x3f6f5d39, v33
	s_delay_alu instid0(VALU_DEP_4) | instskip(NEXT) | instid1(VALU_DEP_3)
	v_dual_add_f32 v47, v48, v47 :: v_dual_add_f32 v48, v49, v52
	v_dual_mul_f32 v49, 0x3eedf032, v33 :: v_dual_add_f32 v52, v53, v56
	s_delay_alu instid0(VALU_DEP_3) | instskip(SKIP_2) | instid1(VALU_DEP_4)
	v_dual_add_f32 v54, v67, v54 :: v_dual_fmamk_f32 v53, v34, 0xbeb58ec6, v61
	v_fma_f32 v56, 0xbeb58ec6, v34, -v61
	v_mul_f32_e32 v61, 0xbf52af12, v33
	v_fmamk_f32 v62, v34, 0x3f62ad3f, v49
	v_fma_f32 v49, 0x3f62ad3f, v34, -v49
	s_delay_alu instid0(VALU_DEP_4) | instskip(NEXT) | instid1(VALU_DEP_4)
	v_dual_add_f32 v53, v54, v53 :: v_dual_add_f32 v54, v55, v56
	v_fmamk_f32 v55, v34, 0x3f116cb1, v61
	v_mul_f32_e32 v33, 0xbf29c268, v33
	s_delay_alu instid0(VALU_DEP_4)
	v_add_f32_e32 v5, v5, v49
	v_fma_f32 v49, 0x3f116cb1, v34, -v61
	v_add_f32_e32 v67, v14, v28
	v_add_f32_e32 v45, v51, v55
	v_fmamk_f32 v51, v34, 0xbf3f9e67, v33
	v_fma_f32 v33, 0xbf3f9e67, v34, -v33
	v_add_f32_e32 v34, v50, v49
	v_dual_fmamk_f32 v50, v44, 0xbeb58ec6, v46 :: v_dual_sub_f32 v25, v21, v19
	v_mul_f32_e32 v37, 0xbf29c268, v29
	s_delay_alu instid0(VALU_DEP_4) | instskip(SKIP_1) | instid1(VALU_DEP_4)
	v_add_f32_e32 v33, v41, v33
	v_fma_f32 v41, 0xbeb58ec6, v44, -v46
	v_dual_add_f32 v42, v42, v50 :: v_dual_mul_f32 v49, 0x3f29c268, v43
	s_delay_alu instid0(VALU_DEP_2) | instskip(SKIP_1) | instid1(VALU_DEP_3)
	v_dual_mul_f32 v50, 0x3eedf032, v43 :: v_dual_add_f32 v41, v47, v41
	v_mul_f32_e32 v47, 0xbf7e222b, v43
	v_fmamk_f32 v46, v44, 0xbf3f9e67, v49
	v_fma_f32 v49, 0xbf3f9e67, v44, -v49
	s_delay_alu instid0(VALU_DEP_3) | instskip(NEXT) | instid1(VALU_DEP_3)
	v_fmamk_f32 v55, v44, 0x3df6dbef, v47
	v_add_f32_e32 v46, v48, v46
	s_delay_alu instid0(VALU_DEP_3)
	v_add_f32_e32 v48, v52, v49
	v_fmamk_f32 v49, v44, 0x3f62ad3f, v50
	v_mul_f32_e32 v52, 0x3e750f2a, v43
	v_fma_f32 v50, 0x3f62ad3f, v44, -v50
	v_add_f32_e32 v63, v68, v63
	v_fma_f32 v47, 0x3df6dbef, v44, -v47
	v_add_f32_e32 v49, v53, v49
	s_delay_alu instid0(VALU_DEP_4) | instskip(NEXT) | instid1(VALU_DEP_3)
	v_dual_fmamk_f32 v53, v44, 0xbf788fa5, v52 :: v_dual_add_f32 v50, v54, v50
	v_dual_add_f32 v56, v63, v62 :: v_dual_add_f32 v5, v5, v47
	v_fmamk_f32 v47, v44, 0x3f116cb1, v39
	v_fma_f32 v39, 0x3f116cb1, v44, -v39
	v_sub_f32_e32 v63, v35, v31
	v_add_f32_e32 v43, v45, v53
	v_fma_f32 v45, 0xbf788fa5, v44, -v52
	s_delay_alu instid0(VALU_DEP_4) | instskip(NEXT) | instid1(VALU_DEP_4)
	v_dual_mul_f32 v44, 0x3f7e222b, v17 :: v_dual_add_f32 v33, v33, v39
	v_mul_f32_e32 v66, 0xbf6f5d39, v63
	v_fma_f32 v39, 0xbf3f9e67, v18, -v40
	s_delay_alu instid0(VALU_DEP_4)
	v_add_f32_e32 v34, v34, v45
	v_fmamk_f32 v45, v18, 0xbf3f9e67, v40
	v_fmamk_f32 v40, v18, 0x3df6dbef, v44
	v_fma_f32 v44, 0x3df6dbef, v18, -v44
	v_add_f32_e32 v62, v36, v32
	v_sub_f32_e32 v68, v13, v27
	v_add_f32_e32 v42, v42, v45
	s_delay_alu instid0(VALU_DEP_4) | instskip(SKIP_3) | instid1(VALU_DEP_3)
	v_dual_mul_f32 v45, 0xbf52af12, v17 :: v_dual_add_f32 v44, v48, v44
	v_dual_add_f32 v59, v70, v59 :: v_dual_mul_f32 v48, 0x3eedf032, v17
	v_dual_add_f32 v70, v16, v24 :: v_dual_add_f32 v39, v41, v39
	v_mul_f32_e32 v41, 0x3e750f2a, v17
	v_add_f32_e32 v51, v59, v51
	v_mul_f32_e32 v17, 0xbf6f5d39, v17
	v_fma_f32 v11, 0x3f62ad3f, v18, -v48
	v_add_f32_e32 v40, v46, v40
	s_delay_alu instid0(VALU_DEP_4)
	v_dual_fmamk_f32 v46, v18, 0x3f116cb1, v45 :: v_dual_add_f32 v47, v51, v47
	v_fmamk_f32 v51, v18, 0xbf788fa5, v41
	v_fma_f32 v41, 0xbf788fa5, v18, -v41
	v_add_f32_e32 v61, v34, v11
	v_mul_f32_e32 v11, 0x3eedf032, v7
	v_fma_f32 v45, 0x3f116cb1, v18, -v45
	v_add_f32_e32 v46, v49, v46
	v_add_f32_e32 v5, v5, v41
	v_fmamk_f32 v41, v18, 0xbeb58ec6, v17
	v_fma_f32 v17, 0xbeb58ec6, v18, -v17
	v_add_f32_e32 v45, v50, v45
	v_fmamk_f32 v49, v18, 0x3f62ad3f, v48
	v_fmamk_f32 v18, v8, 0xbf788fa5, v12
	v_fma_f32 v12, 0xbf788fa5, v8, -v12
	v_dual_add_f32 v76, v33, v17 :: v_dual_fmamk_f32 v17, v8, 0x3f62ad3f, v11
	v_mul_f32_e32 v33, 0xbf29c268, v7
	v_fma_f32 v11, 0x3f62ad3f, v8, -v11
	v_add_f32_e32 v54, v56, v55
	s_delay_alu instid0(VALU_DEP_4) | instskip(NEXT) | instid1(VALU_DEP_4)
	v_dual_add_f32 v78, v39, v12 :: v_dual_add_f32 v79, v40, v17
	v_fmamk_f32 v12, v8, 0xbf3f9e67, v33
	v_mul_f32_e32 v17, 0x3f52af12, v7
	v_add_f32_e32 v80, v44, v11
	v_fma_f32 v11, 0xbf3f9e67, v8, -v33
	v_add_f32_e32 v50, v54, v51
	s_delay_alu instid0(VALU_DEP_4) | instskip(NEXT) | instid1(VALU_DEP_3)
	v_dual_add_f32 v81, v46, v12 :: v_dual_fmamk_f32 v12, v8, 0x3f116cb1, v17
	v_dual_mul_f32 v71, 0xbf52af12, v68 :: v_dual_add_f32 v82, v45, v11
	v_fma_f32 v11, 0x3f116cb1, v8, -v17
	v_lshlrev_b32_e32 v59, 2, v0
	s_delay_alu instid0(VALU_DEP_4)
	v_add_f32_e32 v83, v50, v12
	v_fma_f32 v12, 0x3f62ad3f, v70, -v72
	v_add_f32_e32 v56, v43, v49
	v_add_f32_e32 v84, v5, v11
	v_mul_f32_e32 v5, 0xbf6f5d39, v7
	v_fma_f32 v11, 0x3f116cb1, v67, -v71
	v_add_f32_e32 v9, v6, v12
	v_mul_f32_e32 v7, 0x3f7e222b, v7
	v_add_f32_e32 v75, v47, v41
	v_fmamk_f32 v85, v8, 0xbeb58ec6, v5
	v_fma_f32 v86, 0xbeb58ec6, v8, -v5
	v_lshlrev_b32_e32 v5, 2, v58
	v_add_f32_e32 v9, v9, v11
	v_fma_f32 v11, 0x3df6dbef, v64, -v69
	v_add_f32_e32 v77, v42, v18
	s_delay_alu instid0(VALU_DEP_4) | instskip(SKIP_1) | instid1(VALU_DEP_4)
	v_dual_fmamk_f32 v87, v8, 0x3df6dbef, v7 :: v_dual_add_nc_u32 v0, 0, v5
	v_fma_f32 v88, 0x3df6dbef, v8, -v7
	v_add_f32_e32 v9, v9, v11
	v_fma_f32 v11, 0xbeb58ec6, v62, -v66
	v_add_f32_e32 v27, v26, v38
	v_add_nc_u32_e32 v55, v0, v59
	v_add3_u32 v0, 0, v59, v5
	v_mul_f32_e32 v31, 0xbe750f2a, v25
	v_add_f32_e32 v89, v9, v11
	v_fma_f32 v90, 0xbf3f9e67, v27, -v37
	v_add_nc_u32_e32 v21, 0xa00, v55
	v_add_nc_u32_e32 v35, 0xc00, v55
	;; [unrolled: 1-line block ×5, first 2 shown]
	ds_load_b32 v15, v0
	ds_load_2addr_b32 v[53:54], v55 offset0:195 offset1:234
	ds_load_2addr_b32 v[17:18], v13 offset0:95 offset1:134
	;; [unrolled: 1-line block ×12, first 2 shown]
	v_add_f32_e32 v9, v22, v20
	v_add_f32_e32 v89, v89, v90
	v_dual_add_f32 v85, v56, v85 :: v_dual_add_f32 v86, v61, v86
	v_add_nc_u32_e32 v56, 39, v58
	s_delay_alu instid0(VALU_DEP_4)
	v_fma_f32 v90, 0xbf788fa5, v9, -v31
	v_dual_add_f32 v75, v75, v87 :: v_dual_add_f32 v76, v76, v88
	global_wb scope:SCOPE_SE
	s_wait_dscnt 0x0
	s_barrier_signal -1
	v_add_f32_e32 v61, v89, v90
	s_barrier_wait -1
	global_inv scope:SCOPE_SE
	ds_store_2addr_b32 v60, v74, v77 offset1:1
	ds_store_2addr_b32 v60, v79, v81 offset0:2 offset1:3
	ds_store_2addr_b32 v60, v83, v85 offset0:4 offset1:5
	;; [unrolled: 1-line block ×5, first 2 shown]
	ds_store_b32 v60, v78 offset:48
	s_and_saveexec_b32 s1, s0
	s_cbranch_execz .LBB0_18
; %bb.17:
	v_dual_add_f32 v16, v6, v16 :: v_dual_mul_f32 v77, 0xbf788fa5, v9
	v_mul_f32_e32 v75, 0x3df6dbef, v64
	v_mul_f32_e32 v78, 0xbf52af12, v73
	;; [unrolled: 1-line block ×3, first 2 shown]
	s_delay_alu instid0(VALU_DEP_4) | instskip(SKIP_2) | instid1(VALU_DEP_3)
	v_dual_add_f32 v14, v16, v14 :: v_dual_mul_f32 v79, 0xbf7e222b, v73
	v_mul_f32_e32 v74, 0x3f116cb1, v67
	v_mul_f32_e32 v82, 0x3f29c268, v68
	v_dual_mul_f32 v81, 0xbf6f5d39, v68 :: v_dual_add_f32 v10, v14, v10
	v_mul_f32_e32 v14, 0xbf6f5d39, v73
	v_mul_f32_e32 v73, 0xbe750f2a, v73
	;; [unrolled: 1-line block ×3, first 2 shown]
	s_delay_alu instid0(VALU_DEP_4) | instskip(NEXT) | instid1(VALU_DEP_4)
	v_add_f32_e32 v10, v10, v36
	v_fmamk_f32 v83, v70, 0xbeb58ec6, v14
	s_delay_alu instid0(VALU_DEP_4)
	v_fmamk_f32 v84, v70, 0xbf788fa5, v73
	v_mul_f32_e32 v60, 0x3f62ad3f, v70
	v_fma_f32 v14, 0xbeb58ec6, v70, -v14
	v_add_f32_e32 v10, v10, v26
	v_fma_f32 v26, 0x3f116cb1, v70, -v78
	v_mul_f32_e32 v36, 0xbe750f2a, v68
	v_add_f32_e32 v60, v60, v72
	v_fmamk_f32 v72, v70, 0x3f116cb1, v78
	v_add_f32_e32 v10, v10, v22
	v_fmamk_f32 v78, v70, 0x3df6dbef, v79
	v_fma_f32 v79, 0x3df6dbef, v70, -v79
	v_fmamk_f32 v22, v70, 0xbf3f9e67, v80
	v_fma_f32 v80, 0xbf3f9e67, v70, -v80
	v_add_f32_e32 v10, v10, v20
	v_fma_f32 v20, 0xbf788fa5, v70, -v73
	v_dual_add_f32 v70, v74, v71 :: v_dual_fmamk_f32 v71, v67, 0xbeb58ec6, v81
	v_add_f32_e32 v60, v6, v60
	s_delay_alu instid0(VALU_DEP_4)
	v_add_f32_e32 v10, v38, v10
	v_add_f32_e32 v72, v6, v72
	;; [unrolled: 1-line block ×14, first 2 shown]
	v_fmamk_f32 v38, v67, 0xbf788fa5, v36
	v_add_f32_e32 v10, v28, v10
	v_fma_f32 v60, 0xbf3f9e67, v67, -v82
	v_fma_f32 v73, 0xbeb58ec6, v67, -v81
	;; [unrolled: 1-line block ×3, first 2 shown]
	v_add_f32_e32 v28, v72, v71
	v_add_f32_e32 v10, v24, v10
	v_mul_f32_e32 v24, 0x3f7e222b, v68
	v_mul_f32_e32 v68, 0x3eedf032, v68
	v_add_f32_e32 v32, v32, v38
	v_fmamk_f32 v38, v67, 0xbf3f9e67, v82
	v_add_f32_e32 v14, v14, v60
	v_fmamk_f32 v70, v67, 0x3df6dbef, v24
	v_fma_f32 v24, 0x3df6dbef, v67, -v24
	v_fmamk_f32 v60, v67, 0x3f62ad3f, v68
	v_add_f32_e32 v26, v26, v73
	v_add_f32_e32 v36, v74, v36
	;; [unrolled: 1-line block ×3, first 2 shown]
	v_mul_f32_e32 v70, 0xbe750f2a, v65
	v_add_f32_e32 v24, v30, v24
	v_fma_f32 v30, 0x3f62ad3f, v67, -v68
	v_add_f32_e32 v67, v75, v69
	v_mul_f32_e32 v69, 0x3f6f5d39, v65
	v_fmamk_f32 v68, v64, 0xbf788fa5, v70
	v_add_f32_e32 v38, v78, v38
	v_add_f32_e32 v6, v6, v30
	;; [unrolled: 1-line block ×3, first 2 shown]
	v_fma_f32 v30, 0xbf788fa5, v64, -v70
	v_add_f32_e32 v28, v28, v68
	v_fmamk_f32 v67, v64, 0xbeb58ec6, v69
	v_mul_f32_e32 v68, 0x3eedf032, v65
	v_fma_f32 v69, 0xbeb58ec6, v64, -v69
	v_add_f32_e32 v26, v26, v30
	v_mul_f32_e32 v30, 0xbf52af12, v65
	v_add_f32_e32 v32, v32, v67
	v_fmamk_f32 v67, v64, 0x3f62ad3f, v68
	v_fma_f32 v68, 0x3f62ad3f, v64, -v68
	v_add_f32_e32 v36, v36, v69
	v_fmamk_f32 v69, v64, 0x3f116cb1, v30
	v_mul_f32_e32 v65, 0xbf29c268, v65
	v_fma_f32 v30, 0x3f116cb1, v64, -v30
	v_add_f32_e32 v14, v14, v68
	v_mul_f32_e32 v68, 0x3f29c268, v63
	v_mul_f32_e32 v16, 0xbf3f9e67, v27
	v_dual_add_f32 v38, v38, v67 :: v_dual_fmamk_f32 v67, v64, 0xbf3f9e67, v65
	v_add_f32_e32 v24, v24, v30
	v_fma_f32 v30, 0xbf3f9e67, v64, -v65
	v_dual_add_f32 v64, v76, v66 :: v_dual_fmamk_f32 v65, v62, 0xbf3f9e67, v68
	v_mul_f32_e32 v66, 0x3eedf032, v63
	v_add_f32_e32 v60, v79, v60
	s_delay_alu instid0(VALU_DEP_4) | instskip(NEXT) | instid1(VALU_DEP_4)
	v_add_f32_e32 v6, v6, v30
	v_add_f32_e32 v20, v20, v64
	v_fma_f32 v30, 0xbf3f9e67, v62, -v68
	v_add_f32_e32 v28, v28, v65
	v_fmamk_f32 v64, v62, 0x3f62ad3f, v66
	v_mul_f32_e32 v65, 0xbf7e222b, v63
	v_fma_f32 v66, 0x3f62ad3f, v62, -v66
	v_add_f32_e32 v26, v26, v30
	v_mul_f32_e32 v30, 0x3e750f2a, v63
	v_add_f32_e32 v32, v32, v64
	v_fmamk_f32 v64, v62, 0x3df6dbef, v65
	v_fma_f32 v65, 0x3df6dbef, v62, -v65
	v_mul_f32_e32 v63, 0x3f52af12, v63
	v_add_f32_e32 v60, v60, v67
	v_add_f32_e32 v36, v36, v66
	v_fmamk_f32 v66, v62, 0xbf788fa5, v30
	v_add_f32_e32 v38, v38, v64
	v_fma_f32 v30, 0xbf788fa5, v62, -v30
	v_add_f32_e32 v14, v14, v65
	v_fmamk_f32 v64, v62, 0x3f116cb1, v63
	v_mul_f32_e32 v65, 0x3f7e222b, v29
	v_add_f32_e32 v16, v16, v37
	v_add_f32_e32 v24, v24, v30
	v_fma_f32 v30, 0x3f116cb1, v62, -v63
	s_delay_alu instid0(VALU_DEP_4)
	v_dual_add_f32 v37, v60, v64 :: v_dual_fmamk_f32 v60, v27, 0x3df6dbef, v65
	v_mul_f32_e32 v62, 0xbf52af12, v29
	v_add_f32_e32 v16, v20, v16
	v_fma_f32 v20, 0x3df6dbef, v27, -v65
	v_add_f32_e32 v6, v6, v30
	v_add_f32_e32 v28, v28, v60
	v_fmamk_f32 v30, v27, 0x3f116cb1, v62
	v_fma_f32 v60, 0x3f116cb1, v27, -v62
	v_mul_f32_e32 v62, 0x3e750f2a, v29
	v_add_f32_e32 v20, v26, v20
	v_mul_f32_e32 v26, 0x3eedf032, v29
	v_add_f32_e32 v30, v32, v30
	v_add_f32_e32 v32, v36, v60
	v_fmamk_f32 v36, v27, 0xbf788fa5, v62
	v_mul_f32_e32 v29, 0xbf6f5d39, v29
	v_fma_f32 v60, 0xbf788fa5, v27, -v62
	v_fmamk_f32 v62, v27, 0x3f62ad3f, v26
	v_fma_f32 v26, 0x3f62ad3f, v27, -v26
	v_add_f32_e32 v36, v38, v36
	v_fmamk_f32 v38, v27, 0xbeb58ec6, v29
	v_add_f32_e32 v22, v22, v69
	v_add_f32_e32 v14, v14, v60
	;; [unrolled: 1-line block ×3, first 2 shown]
	v_fma_f32 v26, 0xbeb58ec6, v27, -v29
	v_mul_f32_e32 v27, 0x3eedf032, v25
	v_add_f32_e32 v29, v77, v31
	v_add_f32_e32 v31, v37, v38
	s_delay_alu instid0(VALU_DEP_4) | instskip(NEXT) | instid1(VALU_DEP_4)
	v_dual_mul_f32 v37, 0xbf29c268, v25 :: v_dual_add_f32 v6, v6, v26
	v_fmamk_f32 v26, v9, 0x3f62ad3f, v27
	s_delay_alu instid0(VALU_DEP_4) | instskip(SKIP_1) | instid1(VALU_DEP_4)
	v_add_f32_e32 v16, v16, v29
	v_fma_f32 v27, 0x3f62ad3f, v9, -v27
	v_fmamk_f32 v29, v9, 0xbf3f9e67, v37
	v_mul_f32_e32 v38, 0x3f52af12, v25
	v_add_f32_e32 v26, v28, v26
	v_fma_f32 v28, 0xbf3f9e67, v9, -v37
	s_delay_alu instid0(VALU_DEP_4) | instskip(NEXT) | instid1(VALU_DEP_4)
	v_dual_add_f32 v20, v20, v27 :: v_dual_add_f32 v27, v30, v29
	v_fma_f32 v30, 0x3f116cb1, v9, -v38
	v_dual_add_f32 v22, v22, v66 :: v_dual_fmamk_f32 v29, v9, 0x3f116cb1, v38
	s_delay_alu instid0(VALU_DEP_4) | instskip(SKIP_1) | instid1(VALU_DEP_4)
	v_add_f32_e32 v28, v32, v28
	v_mul_f32_e32 v32, 0xbf6f5d39, v25
	v_dual_mul_f32 v25, 0x3f7e222b, v25 :: v_dual_add_f32 v14, v14, v30
	v_mul_u32_u24_e32 v30, 52, v56
	v_dual_add_f32 v22, v22, v62 :: v_dual_add_f32 v29, v36, v29
	s_delay_alu instid0(VALU_DEP_4) | instskip(NEXT) | instid1(VALU_DEP_4)
	v_fmamk_f32 v36, v9, 0xbeb58ec6, v32
	v_fmamk_f32 v37, v9, 0x3df6dbef, v25
	v_fma_f32 v25, 0x3df6dbef, v9, -v25
	v_fma_f32 v9, 0xbeb58ec6, v9, -v32
	v_add3_u32 v30, 0, v30, v59
	s_delay_alu instid0(VALU_DEP_4) | instskip(NEXT) | instid1(VALU_DEP_4)
	v_dual_add_f32 v22, v22, v36 :: v_dual_add_f32 v31, v31, v37
	v_add_f32_e32 v6, v6, v25
	s_delay_alu instid0(VALU_DEP_4)
	v_add_f32_e32 v9, v24, v9
	ds_store_2addr_b32 v30, v10, v16 offset1:1
	ds_store_2addr_b32 v30, v26, v27 offset0:2 offset1:3
	ds_store_2addr_b32 v30, v29, v22 offset0:4 offset1:5
	;; [unrolled: 1-line block ×5, first 2 shown]
	ds_store_b32 v30, v61 offset:48
.LBB0_18:
	s_wait_alu 0xfffe
	s_or_b32 exec_lo, exec_lo, s1
	v_and_b32_e32 v6, 0xff, v58
	global_wb scope:SCOPE_SE
	s_wait_dscnt 0x0
	s_barrier_signal -1
	s_barrier_wait -1
	global_inv scope:SCOPE_SE
	v_mul_lo_u16 v6, 0x4f, v6
	v_cmp_gt_u32_e64 s0, 13, v58
	s_delay_alu instid0(VALU_DEP_2) | instskip(NEXT) | instid1(VALU_DEP_1)
	v_lshrrev_b16 v6, 10, v6
	v_mul_lo_u16 v10, v6, 13
	s_delay_alu instid0(VALU_DEP_1) | instskip(NEXT) | instid1(VALU_DEP_1)
	v_sub_nc_u16 v10, v58, v10
	v_and_b32_e32 v16, 0xff, v10
	s_delay_alu instid0(VALU_DEP_1)
	v_lshlrev_b32_e32 v10, 5, v16
	s_clause 0x1
	global_load_b128 v[24:27], v10, s[8:9]
	global_load_b128 v[70:73], v10, s[8:9] offset:16
	v_and_b32_e32 v9, 0xff, v56
	v_add_nc_u32_e32 v63, 0x9c, v58
	s_delay_alu instid0(VALU_DEP_2) | instskip(NEXT) | instid1(VALU_DEP_2)
	v_mul_lo_u16 v9, 0x4f, v9
	v_and_b32_e32 v65, 0xff, v63
	s_delay_alu instid0(VALU_DEP_2) | instskip(NEXT) | instid1(VALU_DEP_1)
	v_lshrrev_b16 v14, 10, v9
	v_mul_lo_u16 v9, v14, 13
	s_delay_alu instid0(VALU_DEP_1) | instskip(NEXT) | instid1(VALU_DEP_1)
	v_sub_nc_u16 v9, v56, v9
	v_and_b32_e32 v30, 0xff, v9
	s_wait_loadcnt 0x1
	s_delay_alu instid0(VALU_DEP_1)
	v_dual_mul_f32 v90, v53, v25 :: v_dual_lshlrev_b32 v9, 5, v30
	s_clause 0x1
	global_load_b128 v[83:86], v9, s[8:9]
	global_load_b128 v[96:99], v9, s[8:9] offset:16
	s_wait_loadcnt 0x2
	v_dual_mul_f32 v87, v51, v71 :: v_dual_add_nc_u32 v60, 0x4e, v58
	v_dual_mul_f32 v91, v18, v27 :: v_dual_add_nc_u32 v62, 0x75, v58
	v_mul_f32_e32 v82, v34, v73
	s_wait_loadcnt 0x0
	s_delay_alu instid0(VALU_DEP_3) | instskip(NEXT) | instid1(VALU_DEP_3)
	v_dual_mul_f32 v79, v52, v97 :: v_dual_and_b32 v20, 0xff, v60
	v_and_b32_e32 v64, 0xff, v62
	s_delay_alu instid0(VALU_DEP_2) | instskip(NEXT) | instid1(VALU_DEP_2)
	v_mul_lo_u16 v20, 0x4f, v20
	v_mul_lo_u16 v10, 0x4f, v64
	s_delay_alu instid0(VALU_DEP_2) | instskip(NEXT) | instid1(VALU_DEP_2)
	v_lshrrev_b16 v20, 10, v20
	v_lshrrev_b16 v37, 10, v10
	s_delay_alu instid0(VALU_DEP_2) | instskip(NEXT) | instid1(VALU_DEP_2)
	v_mul_lo_u16 v22, v20, 13
	v_mul_lo_u16 v28, v37, 13
	s_delay_alu instid0(VALU_DEP_2) | instskip(SKIP_1) | instid1(VALU_DEP_3)
	v_sub_nc_u16 v10, v60, v22
	v_mul_lo_u16 v22, 0x4f, v65
	v_sub_nc_u16 v9, v62, v28
	s_delay_alu instid0(VALU_DEP_3) | instskip(NEXT) | instid1(VALU_DEP_3)
	v_and_b32_e32 v38, 0xff, v10
	v_lshrrev_b16 v66, 10, v22
	s_delay_alu instid0(VALU_DEP_3) | instskip(NEXT) | instid1(VALU_DEP_3)
	v_and_b32_e32 v67, 0xff, v9
	v_lshlrev_b32_e32 v10, 5, v38
	s_delay_alu instid0(VALU_DEP_3)
	v_mul_lo_u16 v22, v66, 13
	s_clause 0x1
	global_load_b128 v[100:103], v10, s[8:9]
	global_load_b128 v[104:107], v10, s[8:9] offset:16
	v_sub_nc_u16 v9, v63, v22
	v_lshlrev_b32_e32 v22, 5, v67
	s_delay_alu instid0(VALU_DEP_2)
	v_and_b32_e32 v68, 0xff, v9
	global_load_b128 v[108:111], v22, s[8:9]
	v_lshlrev_b32_e32 v9, 5, v68
	s_clause 0x2
	global_load_b128 v[112:115], v22, s[8:9] offset:16
	global_load_b128 v[116:119], v9, s[8:9]
	global_load_b128 v[120:123], v9, s[8:9] offset:16
	ds_load_2addr_b32 v[28:29], v55 offset0:195 offset1:234
	ds_load_2addr_b32 v[124:125], v13 offset0:95 offset1:134
	;; [unrolled: 1-line block ×4, first 2 shown]
	ds_load_b32 v36, v0
	ds_load_2addr_b32 v[9:10], v55 offset0:39 offset1:78
	ds_load_2addr_b32 v[88:89], v13 offset0:173 offset1:212
	;; [unrolled: 1-line block ×8, first 2 shown]
	v_and_b32_e32 v6, 0xffff, v6
	v_and_b32_e32 v20, 0xffff, v20
	v_lshlrev_b32_e32 v16, 2, v16
	v_lshlrev_b32_e32 v38, 2, v38
	v_and_b32_e32 v37, 0xffff, v37
	v_mad_u32_u24 v6, 0x104, v6, 0
	v_mad_u32_u24 v20, 0x104, v20, 0
	s_wait_dscnt 0xc
	v_fmac_f32_e32 v90, v28, v24
	s_wait_dscnt 0xa
	v_dual_fmac_f32 v79, v75, v96 :: v_dual_and_b32 v66, 0xffff, v66
	v_add3_u32 v69, v6, v16, v59
	v_mul_f32_e32 v6, v28, v25
	v_mul_f32_e32 v16, v74, v71
	v_and_b32_e32 v14, 0xffff, v14
	v_mad_u32_u24 v37, 0x104, v37, 0
	v_mad_u32_u24 v66, 0x104, v66, 0
	v_fma_f32 v92, v53, v24, -v6
	v_fma_f32 v94, v51, v70, -v16
	v_mul_f32_e32 v16, v75, v97
	v_mad_u32_u24 v14, 0x104, v14, 0
	v_fmac_f32_e32 v91, v125, v26
	v_fmac_f32_e32 v87, v74, v70
	global_wb scope:SCOPE_SE
	s_wait_loadcnt_dscnt 0x0
	s_barrier_signal -1
	s_barrier_wait -1
	global_inv scope:SCOPE_SE
	v_mul_f32_e32 v75, v48, v107
	v_lshlrev_b32_e32 v76, 2, v67
	v_add3_u32 v67, v20, v38, v59
	v_dual_mul_f32 v20, v127, v73 :: v_dual_mul_f32 v73, v50, v103
	s_delay_alu instid0(VALU_DEP_4) | instskip(NEXT) | instid1(VALU_DEP_4)
	v_fmac_f32_e32 v75, v129, v106
	v_add3_u32 v38, v37, v76, v59
	v_mul_f32_e32 v76, v54, v84
	s_delay_alu instid0(VALU_DEP_4) | instskip(SKIP_4) | instid1(VALU_DEP_3)
	v_fma_f32 v95, v34, v72, -v20
	v_fmac_f32_e32 v73, v89, v102
	v_lshlrev_b32_e32 v77, 2, v68
	v_mul_f32_e32 v71, v44, v113
	v_mul_f32_e32 v25, v133, v113
	v_add3_u32 v37, v66, v77, v59
	v_mul_f32_e32 v77, v49, v86
	s_delay_alu instid0(VALU_DEP_4) | instskip(NEXT) | instid1(VALU_DEP_4)
	v_dual_fmac_f32 v71, v133, v112 :: v_dual_lshlrev_b32 v30, 2, v30
	v_fma_f32 v44, v44, v112, -v25
	s_delay_alu instid0(VALU_DEP_3) | instskip(NEXT) | instid1(VALU_DEP_3)
	v_fmac_f32_e32 v77, v88, v85
	v_add3_u32 v68, v14, v30, v59
	v_mul_f32_e32 v14, v125, v27
	v_mul_f32_e32 v27, v23, v119
	s_delay_alu instid0(VALU_DEP_2) | instskip(SKIP_3) | instid1(VALU_DEP_3)
	v_fma_f32 v93, v18, v26, -v14
	v_mul_f32_e32 v18, v128, v99
	v_mul_f32_e32 v14, v88, v86
	;; [unrolled: 1-line block ×3, first 2 shown]
	v_fma_f32 v88, v47, v98, -v18
	v_mul_f32_e32 v80, v47, v99
	v_dual_mul_f32 v47, v42, v119 :: v_dual_mul_f32 v6, v29, v84
	s_delay_alu instid0(VALU_DEP_1) | instskip(NEXT) | instid1(VALU_DEP_2)
	v_fmac_f32_e32 v47, v23, v118
	v_fma_f32 v86, v54, v83, -v6
	v_fmac_f32_e32 v76, v29, v83
	v_fma_f32 v83, v49, v85, -v14
	v_sub_f32_e32 v23, v93, v92
	v_fma_f32 v84, v52, v96, -v16
	v_mul_f32_e32 v52, v46, v109
	s_delay_alu instid0(VALU_DEP_4) | instskip(SKIP_1) | instid1(VALU_DEP_4)
	v_dual_fmac_f32 v82, v127, v72 :: v_dual_sub_f32 v29, v86, v83
	v_sub_f32_e32 v51, v83, v86
	v_dual_sub_f32 v53, v84, v88 :: v_dual_mul_f32 v14, v89, v103
	s_delay_alu instid0(VALU_DEP_4) | instskip(SKIP_2) | instid1(VALU_DEP_4)
	v_fmac_f32_e32 v52, v131, v108
	v_add_f32_e32 v25, v7, v86
	v_dual_fmac_f32 v80, v128, v98 :: v_dual_mul_f32 v49, v33, v121
	v_fma_f32 v78, v50, v102, -v14
	v_mul_f32_e32 v16, v132, v105
	s_delay_alu instid0(VALU_DEP_3) | instskip(NEXT) | instid1(VALU_DEP_2)
	v_dual_mul_f32 v50, v39, v115 :: v_dual_fmac_f32 v49, v126, v120
	v_fma_f32 v81, v43, v104, -v16
	v_mul_f32_e32 v18, v129, v107
	s_delay_alu instid0(VALU_DEP_3) | instskip(SKIP_2) | instid1(VALU_DEP_4)
	v_fmac_f32_e32 v50, v134, v114
	v_mul_f32_e32 v74, v43, v105
	v_sub_f32_e32 v16, v90, v82
	v_fma_f32 v89, v48, v106, -v18
	v_mul_f32_e32 v24, v22, v111
	v_fma_f32 v48, v39, v114, -v26
	v_sub_f32_e32 v18, v92, v93
	v_add_f32_e32 v26, v83, v84
	v_fma_f32 v39, v42, v118, -v27
	v_fma_f32 v43, v41, v110, -v24
	v_mul_f32_e32 v20, v131, v109
	v_sub_f32_e32 v24, v94, v95
	v_add_f32_e32 v42, v86, v88
	v_sub_f32_e32 v102, v48, v44
	v_add_f32_e32 v98, v43, v44
	v_fma_f32 v46, v46, v108, -v20
	v_sub_f32_e32 v20, v95, v94
	v_dual_mul_f32 v70, v41, v111 :: v_dual_sub_f32 v105, v44, v48
	s_delay_alu instid0(VALU_DEP_4) | instskip(NEXT) | instid1(VALU_DEP_4)
	v_fma_f32 v98, -0.5, v98, v11
	v_add_f32_e32 v103, v46, v48
	s_delay_alu instid0(VALU_DEP_4)
	v_add_f32_e32 v18, v18, v20
	v_add_f32_e32 v20, v23, v24
	v_fma_f32 v23, -0.5, v26, v7
	v_mul_f32_e32 v14, v124, v117
	v_fma_f32 v7, -0.5, v42, v7
	v_add_f32_e32 v97, v11, v46
	v_fma_f32 v11, -0.5, v103, v11
	v_sub_f32_e32 v109, v47, v49
	v_fma_f32 v41, v17, v116, -v14
	v_add_f32_e32 v14, v93, v94
	v_dual_fmac_f32 v70, v22, v110 :: v_dual_add_f32 v97, v97, v43
	s_delay_alu instid0(VALU_DEP_3) | instskip(NEXT) | instid1(VALU_DEP_3)
	v_sub_f32_e32 v113, v39, v41
	v_fma_f32 v14, -0.5, v14, v15
	v_dual_mul_f32 v34, v17, v117 :: v_dual_sub_f32 v17, v91, v87
	v_dual_mul_f32 v6, v130, v101 :: v_dual_sub_f32 v27, v76, v80
	s_delay_alu instid0(VALU_DEP_3) | instskip(SKIP_1) | instid1(VALU_DEP_3)
	v_dual_fmamk_f32 v115, v16, 0x3f737871, v14 :: v_dual_sub_f32 v110, v41, v39
	v_add_f32_e32 v106, v12, v41
	v_fma_f32 v85, v45, v100, -v6
	s_delay_alu instid0(VALU_DEP_3) | instskip(SKIP_1) | instid1(VALU_DEP_3)
	v_dual_fmac_f32 v115, 0x3f167918, v17 :: v_dual_sub_f32 v30, v88, v84
	v_fmac_f32_e32 v14, 0xbf737871, v16
	v_add_f32_e32 v26, v8, v85
	s_delay_alu instid0(VALU_DEP_3) | instskip(NEXT) | instid1(VALU_DEP_3)
	v_dual_add_f32 v54, v85, v89 :: v_dual_fmac_f32 v115, 0x3e9e377a, v18
	v_fmac_f32_e32 v14, 0xbf167918, v17
	s_delay_alu instid0(VALU_DEP_3) | instskip(SKIP_3) | instid1(VALU_DEP_2)
	v_add_f32_e32 v26, v26, v78
	v_add_f32_e32 v22, v92, v95
	v_dual_mul_f32 v72, v45, v101 :: v_dual_sub_f32 v101, v46, v43
	v_dual_mul_f32 v6, v126, v121 :: v_dual_mul_f32 v45, v40, v123
	v_add_f32_e32 v101, v101, v102
	s_delay_alu instid0(VALU_DEP_2)
	v_fma_f32 v33, v33, v120, -v6
	v_dual_add_f32 v6, v15, v92 :: v_dual_fmac_f32 v15, -0.5, v22
	v_fmac_f32_e32 v72, v130, v100
	v_sub_f32_e32 v100, v70, v71
	v_dual_add_f32 v22, v25, v83 :: v_dual_add_f32 v25, v51, v53
	v_sub_f32_e32 v51, v85, v78
	v_sub_f32_e32 v53, v89, v81
	v_add_f32_e32 v107, v39, v33
	v_mul_f32_e32 v28, v135, v123
	v_fmac_f32_e32 v45, v135, v122
	s_delay_alu instid0(VALU_DEP_4) | instskip(NEXT) | instid1(VALU_DEP_4)
	v_add_f32_e32 v53, v51, v53
	v_fma_f32 v51, -0.5, v107, v12
	v_dual_add_f32 v24, v29, v30 :: v_dual_add_f32 v29, v78, v81
	v_sub_f32_e32 v99, v52, v50
	v_fmac_f32_e32 v74, v132, v104
	v_sub_f32_e32 v104, v43, v46
	v_sub_f32_e32 v66, v78, v85
	v_fma_f32 v29, -0.5, v29, v8
	v_fmac_f32_e32 v8, -0.5, v54
	v_fmamk_f32 v54, v17, 0xbf737871, v15
	v_fmac_f32_e32 v15, 0x3f737871, v17
	v_fma_f32 v40, v40, v122, -v28
	v_add_f32_e32 v103, v104, v105
	v_sub_f32_e32 v96, v81, v89
	v_add_f32_e32 v6, v6, v93
	s_delay_alu instid0(VALU_DEP_4) | instskip(SKIP_1) | instid1(VALU_DEP_4)
	v_dual_add_f32 v104, v106, v39 :: v_dual_sub_f32 v111, v40, v33
	v_fmac_f32_e32 v34, v124, v116
	v_add_f32_e32 v66, v66, v96
	v_fmamk_f32 v96, v27, 0x3f737871, v23
	v_fmac_f32_e32 v23, 0xbf737871, v27
	v_add_f32_e32 v105, v110, v111
	v_sub_f32_e32 v108, v34, v45
	v_sub_f32_e32 v114, v33, v40
	v_fmac_f32_e32 v54, 0x3f167918, v16
	v_fmac_f32_e32 v15, 0xbf167918, v16
	v_add_f32_e32 v17, v26, v81
	v_fmamk_f32 v107, v108, 0x3f737871, v51
	v_dual_fmac_f32 v51, 0xbf737871, v108 :: v_dual_add_f32 v106, v113, v114
	v_add_f32_e32 v104, v104, v33
	s_delay_alu instid0(VALU_DEP_4) | instskip(NEXT) | instid1(VALU_DEP_4)
	v_add_f32_e32 v17, v17, v89
	v_fmac_f32_e32 v107, 0x3f167918, v109
	s_delay_alu instid0(VALU_DEP_4) | instskip(SKIP_3) | instid1(VALU_DEP_4)
	v_dual_fmac_f32 v51, 0xbf167918, v109 :: v_dual_sub_f32 v28, v77, v79
	v_add_f32_e32 v112, v41, v40
	v_fmac_f32_e32 v54, 0x3e9e377a, v20
	v_fmac_f32_e32 v15, 0x3e9e377a, v20
	;; [unrolled: 1-line block ×3, first 2 shown]
	v_fmamk_f32 v102, v28, 0xbf737871, v7
	v_fmac_f32_e32 v7, 0x3f737871, v28
	v_fmac_f32_e32 v12, -0.5, v112
	v_dual_add_f32 v20, v104, v40 :: v_dual_fmac_f32 v107, 0x3e9e377a, v105
	s_delay_alu instid0(VALU_DEP_4) | instskip(NEXT) | instid1(VALU_DEP_4)
	v_fmac_f32_e32 v102, 0x3f167918, v27
	v_fmac_f32_e32 v7, 0xbf167918, v27
	v_add_f32_e32 v27, v97, v44
	v_dual_fmamk_f32 v97, v100, 0xbf737871, v11 :: v_dual_sub_f32 v42, v73, v74
	v_dual_fmac_f32 v23, 0xbf167918, v28 :: v_dual_sub_f32 v30, v72, v75
	v_fmac_f32_e32 v11, 0x3f737871, v100
	v_add_f32_e32 v22, v22, v84
	v_fmac_f32_e32 v96, 0x3f167918, v28
	s_delay_alu instid0(VALU_DEP_4)
	v_fmac_f32_e32 v23, 0x3e9e377a, v24
	v_fmamk_f32 v28, v99, 0x3f737871, v98
	v_fmamk_f32 v110, v109, 0xbf737871, v12
	v_add_f32_e32 v16, v22, v88
	v_fmamk_f32 v22, v30, 0x3f737871, v29
	v_fmac_f32_e32 v29, 0xbf737871, v30
	v_fmac_f32_e32 v12, 0x3f737871, v109
	;; [unrolled: 1-line block ×3, first 2 shown]
	v_fmamk_f32 v26, v42, 0xbf737871, v8
	v_add_f32_e32 v6, v6, v94
	v_fmac_f32_e32 v8, 0x3f737871, v42
	v_fmac_f32_e32 v98, 0xbf737871, v99
	;; [unrolled: 1-line block ×6, first 2 shown]
	v_dual_fmac_f32 v11, 0xbf167918, v99 :: v_dual_fmac_f32 v12, 0xbf167918, v108
	v_add_f32_e32 v6, v6, v95
	v_fmac_f32_e32 v8, 0xbf167918, v30
	v_fmac_f32_e32 v98, 0xbf167918, v100
	;; [unrolled: 1-line block ×3, first 2 shown]
	v_dual_fmac_f32 v7, 0x3e9e377a, v25 :: v_dual_fmac_f32 v14, 0x3e9e377a, v18
	v_fmac_f32_e32 v96, 0x3e9e377a, v24
	v_fmac_f32_e32 v102, 0x3e9e377a, v25
	v_add_f32_e32 v18, v27, v48
	v_fmac_f32_e32 v22, 0x3e9e377a, v53
	v_dual_fmac_f32 v29, 0x3e9e377a, v53 :: v_dual_fmac_f32 v26, 0x3e9e377a, v66
	v_dual_fmac_f32 v28, 0x3e9e377a, v101 :: v_dual_fmac_f32 v11, 0x3e9e377a, v103
	v_fmac_f32_e32 v12, 0x3e9e377a, v106
	v_fmac_f32_e32 v8, 0x3e9e377a, v66
	v_dual_fmac_f32 v98, 0x3e9e377a, v101 :: v_dual_fmac_f32 v97, 0x3e9e377a, v103
	v_fmac_f32_e32 v110, 0x3e9e377a, v106
	ds_store_2addr_b32 v69, v6, v115 offset1:13
	ds_store_2addr_b32 v69, v54, v15 offset0:26 offset1:39
	ds_store_b32 v69, v14 offset:208
	ds_store_2addr_b32 v68, v16, v96 offset1:13
	ds_store_2addr_b32 v68, v102, v7 offset0:26 offset1:39
	ds_store_b32 v68, v23 offset:208
	;; [unrolled: 3-line block ×5, first 2 shown]
	global_wb scope:SCOPE_SE
	s_wait_dscnt 0x0
	s_barrier_signal -1
	s_barrier_wait -1
	global_inv scope:SCOPE_SE
	ds_load_2addr_b32 v[6:7], v13 offset0:17 offset1:69
	ds_load_2addr_b32 v[17:18], v19 offset0:86 offset1:138
	;; [unrolled: 1-line block ×11, first 2 shown]
	ds_load_b32 v66, v0
	ds_load_b32 v53, v55 offset:3692
                                        ; implicit-def: $vgpr54
	s_and_saveexec_b32 s1, s0
	s_cbranch_execz .LBB0_20
; %bb.19:
	ds_load_b32 v51, v55 offset:1248
	ds_load_b32 v57, v55 offset:2548
	;; [unrolled: 1-line block ×3, first 2 shown]
.LBB0_20:
	s_wait_alu 0xfffe
	s_or_b32 exec_lo, exec_lo, s1
	v_dual_add_f32 v8, v91, v87 :: v_dual_add_f32 v35, v36, v90
	v_dual_sub_f32 v42, v92, v95 :: v_dual_add_f32 v95, v90, v82
	v_dual_sub_f32 v92, v93, v94 :: v_dual_sub_f32 v93, v90, v91
	s_delay_alu instid0(VALU_DEP_3) | instskip(SKIP_3) | instid1(VALU_DEP_4)
	v_fma_f32 v8, -0.5, v8, v36
	v_sub_f32_e32 v90, v91, v90
	v_dual_add_f32 v35, v35, v91 :: v_dual_sub_f32 v78, v78, v81
	v_sub_f32_e32 v43, v43, v44
	v_fmamk_f32 v91, v42, 0xbf737871, v8
	v_sub_f32_e32 v94, v82, v87
	s_delay_alu instid0(VALU_DEP_4) | instskip(SKIP_1) | instid1(VALU_DEP_4)
	v_dual_fmac_f32 v8, 0x3f737871, v42 :: v_dual_add_f32 v35, v35, v87
	v_sub_f32_e32 v46, v46, v48
	v_dual_fmac_f32 v91, 0xbf167918, v92 :: v_dual_fmac_f32 v36, -0.5, v95
	s_delay_alu instid0(VALU_DEP_4) | instskip(SKIP_4) | instid1(VALU_DEP_4)
	v_add_f32_e32 v93, v93, v94
	v_sub_f32_e32 v96, v87, v82
	v_fmac_f32_e32 v8, 0x3f167918, v92
	v_dual_add_f32 v94, v77, v79 :: v_dual_add_f32 v35, v35, v82
	v_fmamk_f32 v87, v92, 0x3f737871, v36
	v_dual_fmac_f32 v91, 0x3e9e377a, v93 :: v_dual_add_f32 v82, v90, v96
	v_add_f32_e32 v90, v9, v76
	v_dual_fmac_f32 v8, 0x3e9e377a, v93 :: v_dual_sub_f32 v83, v83, v84
	s_delay_alu instid0(VALU_DEP_4) | instskip(NEXT) | instid1(VALU_DEP_3)
	v_dual_fmac_f32 v87, 0xbf167918, v42 :: v_dual_sub_f32 v86, v86, v88
	v_dual_add_f32 v88, v90, v77 :: v_dual_add_f32 v93, v76, v80
	v_fma_f32 v94, -0.5, v94, v9
	s_delay_alu instid0(VALU_DEP_3) | instskip(SKIP_1) | instid1(VALU_DEP_4)
	v_dual_fmac_f32 v87, 0x3e9e377a, v82 :: v_dual_sub_f32 v84, v76, v77
	v_sub_f32_e32 v76, v77, v76
	v_fma_f32 v9, -0.5, v93, v9
	v_fmac_f32_e32 v36, 0xbf737871, v92
	v_dual_fmamk_f32 v90, v86, 0xbf737871, v94 :: v_dual_sub_f32 v77, v79, v80
	v_sub_f32_e32 v92, v80, v79
	s_delay_alu instid0(VALU_DEP_3) | instskip(SKIP_1) | instid1(VALU_DEP_4)
	v_dual_sub_f32 v81, v72, v73 :: v_dual_fmac_f32 v36, 0x3f167918, v42
	v_sub_f32_e32 v44, v52, v70
	v_add_f32_e32 v76, v76, v77
	v_sub_f32_e32 v40, v41, v40
	global_wb scope:SCOPE_SE
	s_wait_dscnt 0x0
	v_fmac_f32_e32 v36, 0x3e9e377a, v82
	v_fmamk_f32 v82, v83, 0x3f737871, v9
	v_fmac_f32_e32 v9, 0xbf737871, v83
	v_dual_add_f32 v42, v88, v79 :: v_dual_add_f32 v79, v10, v72
	s_barrier_signal -1
	s_barrier_wait -1
	s_delay_alu instid0(VALU_DEP_1) | instskip(NEXT) | instid1(VALU_DEP_2)
	v_dual_fmac_f32 v9, 0x3f167918, v86 :: v_dual_add_f32 v42, v42, v80
	v_dual_add_f32 v80, v73, v74 :: v_dual_add_f32 v77, v79, v73
	v_fmac_f32_e32 v90, 0xbf167918, v83
	v_add_f32_e32 v84, v84, v92
	s_delay_alu instid0(VALU_DEP_4) | instskip(NEXT) | instid1(VALU_DEP_4)
	v_fmac_f32_e32 v9, 0x3e9e377a, v76
	v_fma_f32 v79, -0.5, v80, v10
	v_sub_f32_e32 v80, v85, v89
	v_fmac_f32_e32 v82, 0xbf167918, v86
	v_add_f32_e32 v77, v77, v74
	v_sub_f32_e32 v85, v75, v74
	v_fmac_f32_e32 v94, 0x3f737871, v86
	v_fmac_f32_e32 v90, 0x3e9e377a, v84
	;; [unrolled: 1-line block ×3, first 2 shown]
	v_add_f32_e32 v76, v77, v75
	s_delay_alu instid0(VALU_DEP_4)
	v_dual_add_f32 v77, v81, v85 :: v_dual_fmac_f32 v94, 0x3f167918, v83
	v_fmamk_f32 v83, v80, 0xbf737871, v79
	v_fmac_f32_e32 v79, 0x3f737871, v80
	v_sub_f32_e32 v33, v39, v33
	global_inv scope:SCOPE_SE
	v_fmac_f32_e32 v83, 0xbf167918, v78
	v_fmac_f32_e32 v79, 0x3f167918, v78
	;; [unrolled: 1-line block ×3, first 2 shown]
	v_add_f32_e32 v84, v72, v75
	v_dual_sub_f32 v72, v73, v72 :: v_dual_sub_f32 v73, v74, v75
	v_sub_f32_e32 v75, v50, v71
	s_delay_alu instid0(VALU_DEP_3) | instskip(SKIP_2) | instid1(VALU_DEP_4)
	v_dual_fmac_f32 v83, 0x3e9e377a, v77 :: v_dual_fmac_f32 v10, -0.5, v84
	v_fmac_f32_e32 v79, 0x3e9e377a, v77
	v_add_f32_e32 v77, v52, v50
	v_add_f32_e32 v44, v44, v75
	;; [unrolled: 1-line block ×3, first 2 shown]
	v_dual_add_f32 v72, v72, v73 :: v_dual_add_f32 v73, v31, v52
	v_fmamk_f32 v81, v78, 0x3f737871, v10
	s_delay_alu instid0(VALU_DEP_3) | instskip(SKIP_1) | instid1(VALU_DEP_3)
	v_fma_f32 v74, -0.5, v74, v31
	v_fma_f32 v31, -0.5, v77, v31
	v_dual_add_f32 v48, v73, v70 :: v_dual_fmac_f32 v81, 0xbf167918, v80
	v_sub_f32_e32 v70, v70, v52
	s_delay_alu instid0(VALU_DEP_4) | instskip(SKIP_1) | instid1(VALU_DEP_2)
	v_fmamk_f32 v73, v46, 0xbf737871, v74
	v_fmac_f32_e32 v74, 0x3f737871, v46
	v_fmac_f32_e32 v73, 0xbf167918, v43
	s_delay_alu instid0(VALU_DEP_2) | instskip(NEXT) | instid1(VALU_DEP_2)
	v_fmac_f32_e32 v74, 0x3f167918, v43
	v_fmac_f32_e32 v73, 0x3e9e377a, v44
	s_delay_alu instid0(VALU_DEP_2)
	v_fmac_f32_e32 v74, 0x3e9e377a, v44
	v_fmamk_f32 v44, v43, 0x3f737871, v31
	v_fmac_f32_e32 v31, 0xbf737871, v43
	v_add_f32_e32 v43, v32, v34
	v_fmac_f32_e32 v10, 0xbf737871, v78
	v_dual_add_f32 v48, v48, v71 :: v_dual_fmac_f32 v81, 0x3e9e377a, v72
	s_delay_alu instid0(VALU_DEP_4) | instskip(NEXT) | instid1(VALU_DEP_4)
	v_fmac_f32_e32 v31, 0x3f167918, v46
	v_dual_add_f32 v43, v43, v47 :: v_dual_fmac_f32 v44, 0xbf167918, v46
	s_delay_alu instid0(VALU_DEP_1) | instskip(NEXT) | instid1(VALU_DEP_4)
	v_add_f32_e32 v39, v43, v49
	v_dual_sub_f32 v43, v45, v49 :: v_dual_add_f32 v48, v48, v50
	v_sub_f32_e32 v50, v71, v50
	s_delay_alu instid0(VALU_DEP_1) | instskip(NEXT) | instid1(VALU_DEP_1)
	v_dual_fmac_f32 v10, 0x3f167918, v80 :: v_dual_add_f32 v41, v70, v50
	v_fmac_f32_e32 v10, 0x3e9e377a, v72
	v_add_f32_e32 v72, v47, v49
	v_add_f32_e32 v50, v34, v45
	s_delay_alu instid0(VALU_DEP_4) | instskip(SKIP_1) | instid1(VALU_DEP_4)
	v_fmac_f32_e32 v44, 0x3e9e377a, v41
	v_fmac_f32_e32 v31, 0x3e9e377a, v41
	v_fma_f32 v52, -0.5, v72, v32
	s_delay_alu instid0(VALU_DEP_4) | instskip(SKIP_1) | instid1(VALU_DEP_3)
	v_dual_fmac_f32 v32, -0.5, v50 :: v_dual_sub_f32 v41, v34, v47
	v_dual_sub_f32 v34, v47, v34 :: v_dual_sub_f32 v47, v49, v45
	v_fmamk_f32 v46, v40, 0xbf737871, v52
	v_fmac_f32_e32 v52, 0x3f737871, v40
	s_delay_alu instid0(VALU_DEP_4) | instskip(SKIP_1) | instid1(VALU_DEP_4)
	v_fmamk_f32 v50, v33, 0x3f737871, v32
	v_dual_fmac_f32 v32, 0xbf737871, v33 :: v_dual_add_f32 v41, v41, v43
	v_fmac_f32_e32 v46, 0xbf167918, v33
	s_delay_alu instid0(VALU_DEP_4) | instskip(NEXT) | instid1(VALU_DEP_4)
	v_fmac_f32_e32 v52, 0x3f167918, v33
	v_dual_fmac_f32 v50, 0xbf167918, v40 :: v_dual_add_f32 v33, v34, v47
	s_delay_alu instid0(VALU_DEP_4)
	v_fmac_f32_e32 v32, 0x3f167918, v40
	v_dual_add_f32 v34, v39, v45 :: v_dual_add_nc_u32 v39, 0x800, v55
	v_fmac_f32_e32 v46, 0x3e9e377a, v41
	v_fmac_f32_e32 v52, 0x3e9e377a, v41
	;; [unrolled: 1-line block ×4, first 2 shown]
	ds_store_2addr_b32 v69, v35, v91 offset1:13
	ds_store_2addr_b32 v69, v87, v36 offset0:26 offset1:39
	ds_store_b32 v69, v8 offset:208
	ds_store_2addr_b32 v68, v42, v90 offset1:13
	ds_store_2addr_b32 v68, v82, v9 offset0:26 offset1:39
	ds_store_b32 v68, v94 offset:208
	;; [unrolled: 3-line block ×5, first 2 shown]
	v_add_nc_u32_e32 v10, 0x400, v55
	v_add_nc_u32_e32 v37, 0xa00, v55
	;; [unrolled: 1-line block ×3, first 2 shown]
	global_wb scope:SCOPE_SE
	s_wait_dscnt 0x0
	s_barrier_signal -1
	s_barrier_wait -1
	global_inv scope:SCOPE_SE
	ds_load_2addr_b32 v[31:32], v10 offset0:17 offset1:69
	ds_load_2addr_b32 v[8:9], v39 offset0:86 offset1:138
	;; [unrolled: 1-line block ×11, first 2 shown]
	ds_load_b32 v67, v0
	ds_load_b32 v10, v55 offset:3692
                                        ; implicit-def: $vgpr68
	s_and_saveexec_b32 s1, s0
	s_cbranch_execz .LBB0_22
; %bb.21:
	ds_load_b32 v52, v55 offset:1248
	ds_load_b32 v61, v55 offset:2548
	ds_load_b32 v68, v55 offset:3848
.LBB0_22:
	s_wait_alu 0xfffe
	s_or_b32 exec_lo, exec_lo, s1
	v_dual_mov_b32 v70, 0 :: v_dual_lshlrev_b32 v69, 1, v58
	v_subrev_nc_u32_e32 v71, 26, v58
	v_cmp_gt_u32_e64 s1, 26, v58
	v_mul_lo_u16 v64, 0xfd, v64
	s_delay_alu instid0(VALU_DEP_4) | instskip(SKIP_1) | instid1(VALU_DEP_3)
	v_mov_b32_e32 v74, v70
	s_wait_alu 0xf1ff
	v_cndmask_b32_e64 v79, v71, v56, s1
	v_lshlrev_b64_e32 v[71:72], 3, v[69:70]
	v_add_nc_u32_e32 v69, 26, v69
	s_delay_alu instid0(VALU_DEP_2) | instskip(SKIP_1) | instid1(VALU_DEP_3)
	v_add_co_u32 v71, s1, s8, v71
	s_wait_alu 0xf1ff
	v_add_co_ci_u32_e64 v72, s1, s9, v72, s1
	s_delay_alu instid0(VALU_DEP_3)
	v_lshlrev_b64_e32 v[69:70], 3, v[69:70]
	global_load_b128 v[75:78], v[71:72], off offset:416
	v_lshlrev_b32_e32 v73, 1, v79
	v_lshrrev_b16 v71, 14, v64
	v_mul_lo_u16 v72, 0xfd, v65
	v_add_co_u32 v64, s1, s8, v69
	s_delay_alu instid0(VALU_DEP_4)
	v_lshlrev_b64_e32 v[73:74], 3, v[73:74]
	s_wait_alu 0xf1ff
	v_add_co_ci_u32_e64 v65, s1, s9, v70, s1
	v_lshrrev_b16 v72, 14, v72
	v_mul_lo_u16 v80, 0x41, v71
	v_add_nc_u32_e32 v81, 0x138, v58
	v_add_co_u32 v69, s1, s8, v73
	s_wait_alu 0xf1ff
	v_add_co_ci_u32_e64 v70, s1, s9, v74, s1
	global_load_b128 v[84:87], v[64:65], off offset:416
	v_cmp_lt_u32_e64 s1, 25, v58
	global_load_b128 v[88:91], v[69:70], off offset:416
	v_mul_lo_u16 v64, 0x41, v72
	v_sub_nc_u16 v65, v62, v80
	v_add_nc_u16 v69, v58, 0xc3
	v_add_nc_u32_e32 v72, 0xea, v58
	v_add_nc_u32_e32 v74, 0x111, v58
	v_sub_nc_u16 v64, v63, v64
	v_and_b32_e32 v65, 0xff, v65
	v_and_b32_e32 v73, 0xff, v69
	;; [unrolled: 1-line block ×3, first 2 shown]
	v_lshlrev_b32_e32 v79, 2, v79
	v_and_b32_e32 v70, 0xff, v64
	v_lshlrev_b32_e32 v64, 4, v65
	v_mul_lo_u16 v73, 0xfd, v73
	s_delay_alu instid0(VALU_DEP_3)
	v_lshlrev_b32_e32 v80, 4, v70
	global_load_b128 v[92:95], v64, s[8:9] offset:416
	v_lshrrev_b16 v73, 14, v73
	global_load_b128 v[96:99], v80, s[8:9] offset:416
	v_and_b32_e32 v64, 0xffff, v72
	v_and_b32_e32 v80, 0xffff, v74
	;; [unrolled: 1-line block ×3, first 2 shown]
	s_delay_alu instid0(VALU_DEP_3) | instskip(NEXT) | instid1(VALU_DEP_3)
	v_mul_u32_u24_e32 v64, 0xfc1, v64
	v_mul_u32_u24_e32 v80, 0xfc1, v80
	s_delay_alu instid0(VALU_DEP_2) | instskip(SKIP_2) | instid1(VALU_DEP_4)
	v_lshrrev_b32_e32 v83, 18, v64
	v_mul_lo_u16 v64, 0x41, v73
	v_mul_u32_u24_e32 v73, 0xfc1, v82
	v_lshrrev_b32_e32 v80, 18, v80
	s_delay_alu instid0(VALU_DEP_4) | instskip(NEXT) | instid1(VALU_DEP_4)
	v_mul_lo_u16 v82, 0x41, v83
	v_sub_nc_u16 v64, v69, v64
	s_delay_alu instid0(VALU_DEP_4) | instskip(NEXT) | instid1(VALU_DEP_4)
	v_lshrrev_b32_e32 v69, 18, v73
	v_mul_lo_u16 v73, 0x41, v80
	s_delay_alu instid0(VALU_DEP_4) | instskip(NEXT) | instid1(VALU_DEP_4)
	v_sub_nc_u16 v72, v72, v82
	v_and_b32_e32 v80, 0xff, v64
	s_delay_alu instid0(VALU_DEP_4) | instskip(NEXT) | instid1(VALU_DEP_4)
	v_mul_lo_u16 v64, 0x41, v69
	v_sub_nc_u16 v69, v74, v73
	s_delay_alu instid0(VALU_DEP_4) | instskip(NEXT) | instid1(VALU_DEP_4)
	v_and_b32_e32 v72, 0xffff, v72
	v_lshlrev_b32_e32 v73, 4, v80
	s_delay_alu instid0(VALU_DEP_4) | instskip(NEXT) | instid1(VALU_DEP_4)
	v_sub_nc_u16 v64, v81, v64
	v_and_b32_e32 v69, 0xffff, v69
	v_mad_u32_u24 v81, 0x30c, v71, 0
	v_lshlrev_b32_e32 v74, 4, v72
	s_clause 0x1
	global_load_b128 v[100:103], v73, s[8:9] offset:416
	global_load_b128 v[104:107], v74, s[8:9] offset:416
	v_and_b32_e32 v73, 0xffff, v64
	v_lshlrev_b32_e32 v64, 4, v69
	s_delay_alu instid0(VALU_DEP_2)
	v_lshlrev_b32_e32 v74, 4, v73
	s_clause 0x1
	global_load_b128 v[108:111], v64, s[8:9] offset:416
	global_load_b128 v[112:115], v74, s[8:9] offset:416
	s_wait_alu 0xf1ff
	v_cndmask_b32_e64 v74, 0, 0x30c, s1
	global_wb scope:SCOPE_SE
	s_wait_loadcnt_dscnt 0x0
	s_barrier_signal -1
	s_barrier_wait -1
	global_inv scope:SCOPE_SE
	v_add_nc_u32_e32 v74, 0, v74
	s_delay_alu instid0(VALU_DEP_1) | instskip(SKIP_3) | instid1(VALU_DEP_2)
	v_add3_u32 v71, v74, v79, v59
	v_mad_u32_u24 v74, 0x30c, v83, 0
	v_lshlrev_b32_e32 v79, 2, v80
	v_lshlrev_b32_e32 v80, 2, v72
	v_add3_u32 v72, 0, v79, v59
	s_delay_alu instid0(VALU_DEP_2) | instskip(NEXT) | instid1(VALU_DEP_2)
	v_add3_u32 v74, v74, v80, v59
	v_add_nc_u32_e32 v118, 0x800, v72
	v_mul_f32_e32 v79, v32, v76
	v_mul_f32_e32 v80, v7, v76
	v_mul_f32_e32 v76, v9, v78
	v_lshlrev_b32_e32 v82, 2, v65
	v_mul_f32_e32 v78, v18, v78
	s_delay_alu instid0(VALU_DEP_4) | instskip(NEXT) | instid1(VALU_DEP_4)
	v_fmac_f32_e32 v80, v32, v75
	v_fma_f32 v83, v18, v77, -v76
	v_lshlrev_b32_e32 v70, 2, v70
	s_delay_alu instid0(VALU_DEP_4) | instskip(NEXT) | instid1(VALU_DEP_2)
	v_fmac_f32_e32 v78, v9, v77
	v_add3_u32 v65, 0, v70, v59
	v_add3_u32 v70, v81, v82, v59
	v_dual_mul_f32 v32, v28, v87 :: v_dual_lshlrev_b32 v81, 2, v69
	v_mul_f32_e32 v76, v30, v85
	v_lshlrev_b32_e32 v69, 2, v73
	v_mul_f32_e32 v9, v50, v87
	v_add_nc_u32_e32 v117, 0x400, v65
	v_add3_u32 v73, 0, v81, v59
	v_fmac_f32_e32 v76, v48, v84
	v_fma_f32 v81, v7, v75, -v79
	v_mul_f32_e32 v7, v48, v85
	v_mul_f32_e32 v18, v47, v89
	;; [unrolled: 1-line block ×5, first 2 shown]
	v_fma_f32 v75, v30, v84, -v7
	v_fma_f32 v48, v28, v86, -v9
	v_dual_add_f32 v30, v81, v83 :: v_dual_add_nc_u32 v119, 0xc00, v73
	v_fmac_f32_e32 v32, v50, v86
	v_dual_add_f32 v9, v66, v81 :: v_dual_mul_f32 v50, v23, v95
	v_mul_f32_e32 v87, v45, v93
	v_mul_f32_e32 v77, v25, v93
	;; [unrolled: 1-line block ×4, first 2 shown]
	v_dual_mul_f32 v28, v26, v97 :: v_dual_mul_f32 v7, v24, v99
	v_sub_f32_e32 v86, v80, v78
	v_mul_f32_e32 v93, v44, v99
	v_fma_f32 v84, v29, v88, -v18
	v_fmac_f32_e32 v82, v47, v88
	v_fma_f32 v85, v27, v90, -v85
	v_fmac_f32_e32 v66, -0.5, v30
	v_add_f32_e32 v18, v75, v48
	v_fma_f32 v47, v25, v92, -v87
	v_fma_f32 v25, v26, v96, -v91
	v_dual_fmac_f32 v77, v45, v92 :: v_dual_add_nc_u32 v64, 52, v55
	v_fmac_f32_e32 v79, v49, v90
	v_add_f32_e32 v49, v9, v83
	v_add_f32_e32 v9, v16, v75
	v_fma_f32 v45, v23, v94, -v89
	v_fmac_f32_e32 v50, v43, v94
	v_fmac_f32_e32 v7, v44, v98
	v_sub_f32_e32 v88, v76, v32
	v_fma_f32 v26, v24, v98, -v93
	v_dual_add_f32 v89, v9, v48 :: v_dual_add_nc_u32 v116, 0x200, v55
	v_add_f32_e32 v99, v47, v45
	v_mul_f32_e32 v29, v21, v101
	v_dual_mul_f32 v91, v39, v103 :: v_dual_fmac_f32 v28, v46, v96
	v_dual_mul_f32 v27, v19, v103 :: v_dual_fmamk_f32 v44, v86, 0x3f5db3d7, v66
	v_fmac_f32_e32 v66, 0xbf5db3d7, v86
	v_add_f32_e32 v86, v84, v85
	v_dual_mul_f32 v93, v40, v107 :: v_dual_fmac_f32 v16, -0.5, v18
	v_add_f32_e32 v103, v12, v25
	v_mul_f32_e32 v9, v20, v107
	v_fmac_f32_e32 v29, v41, v100
	v_dual_add_f32 v46, v15, v84 :: v_dual_mul_f32 v95, v10, v111
	v_mul_f32_e32 v43, v57, v113
	v_dual_mul_f32 v90, v41, v101 :: v_dual_sub_f32 v107, v28, v7
	v_mul_f32_e32 v92, v42, v105
	v_mul_f32_e32 v94, v8, v109
	v_dual_mul_f32 v24, v17, v109 :: v_dual_fmac_f32 v27, v39, v102
	s_delay_alu instid0(VALU_DEP_4)
	v_fma_f32 v21, v21, v100, -v90
	v_fma_f32 v41, v19, v102, -v91
	v_mul_f32_e32 v23, v22, v105
	v_add_f32_e32 v105, v25, v26
	v_fma_f32 v86, -0.5, v86, v15
	v_fmamk_f32 v109, v88, 0x3f5db3d7, v16
	v_fma_f32 v15, v22, v104, -v92
	v_fma_f32 v20, v20, v106, -v93
	v_sub_f32_e32 v87, v82, v79
	v_dual_mul_f32 v18, v53, v111 :: v_dual_fmac_f32 v23, v42, v104
	v_mul_f32_e32 v97, v68, v115
	v_dual_sub_f32 v101, v77, v50 :: v_dual_add_f32 v98, v11, v47
	v_fma_f32 v17, v17, v108, -v94
	v_fmac_f32_e32 v24, v8, v108
	v_fma_f32 v8, v53, v110, -v95
	v_add_f32_e32 v53, v21, v41
	v_fma_f32 v11, -0.5, v99, v11
	v_dual_mul_f32 v96, v61, v113 :: v_dual_fmac_f32 v9, v40, v106
	v_dual_mul_f32 v30, v54, v115 :: v_dual_fmac_f32 v43, v61, v112
	v_dual_add_f32 v46, v46, v85 :: v_dual_add_f32 v61, v15, v20
	v_fmac_f32_e32 v12, -0.5, v105
	v_fmac_f32_e32 v16, 0xbf5db3d7, v88
	ds_store_2addr_b32 v55, v49, v44 offset1:65
	ds_store_b32 v55, v66 offset:520
	v_dual_add_f32 v49, v13, v21 :: v_dual_fmac_f32 v18, v10, v110
	v_fma_f32 v39, v54, v114, -v97
	v_fmamk_f32 v40, v87, 0x3f5db3d7, v86
	v_dual_fmac_f32 v86, 0xbf5db3d7, v87 :: v_dual_add_f32 v87, v17, v8
	v_fmamk_f32 v42, v101, 0x3f5db3d7, v11
	v_dual_fmac_f32 v11, 0xbf5db3d7, v101 :: v_dual_sub_f32 v54, v29, v27
	v_fma_f32 v13, -0.5, v53, v13
	v_add_f32_e32 v10, v98, v45
	v_fma_f32 v19, v57, v112, -v96
	v_dual_fmac_f32 v30, v68, v114 :: v_dual_add_f32 v57, v14, v15
	v_fmamk_f32 v44, v107, 0x3f5db3d7, v12
	v_sub_f32_e32 v66, v23, v9
	v_fmac_f32_e32 v14, -0.5, v61
	v_add_f32_e32 v22, v103, v26
	v_add_f32_e32 v68, v6, v17
	v_sub_f32_e32 v88, v24, v18
	ds_store_2addr_b32 v71, v46, v40 offset1:65
	ds_store_b32 v71, v86 offset:520
	ds_store_2addr_b32 v116, v89, v109 offset0:80 offset1:145
	ds_store_b32 v55, v16 offset:1352
	v_add_f32_e32 v16, v49, v41
	v_fmac_f32_e32 v6, -0.5, v87
	ds_store_2addr_b32 v70, v10, v42 offset1:65
	ds_store_b32 v70, v11 offset:520
	ds_store_2addr_b32 v117, v22, v44 offset0:134 offset1:199
	v_fmamk_f32 v11, v66, 0x3f5db3d7, v14
	v_fmamk_f32 v10, v54, 0x3f5db3d7, v13
	v_dual_fmac_f32 v12, 0xbf5db3d7, v107 :: v_dual_fmac_f32 v13, 0xbf5db3d7, v54
	v_add_f32_e32 v40, v57, v20
	v_fmac_f32_e32 v14, 0xbf5db3d7, v66
	v_add_f32_e32 v46, v68, v8
	v_fmamk_f32 v22, v88, 0x3f5db3d7, v6
	v_fmac_f32_e32 v6, 0xbf5db3d7, v88
	ds_store_2addr_b32 v118, v16, v10 offset0:73 offset1:138
	ds_store_b32 v65, v12 offset:2080
	ds_store_b32 v72, v13 offset:2860
	ds_store_2addr_b32 v74, v40, v11 offset1:65
	ds_store_b32 v74, v14 offset:520
	ds_store_2addr_b32 v119, v46, v22 offset0:12 offset1:77
	ds_store_b32 v73, v6 offset:3640
	s_and_saveexec_b32 s1, s0
	s_cbranch_execz .LBB0_24
; %bb.23:
	v_add3_u32 v10, 0, v69, v59
	v_add_f32_e32 v6, v19, v39
	v_sub_f32_e32 v12, v43, v30
	s_delay_alu instid0(VALU_DEP_3) | instskip(NEXT) | instid1(VALU_DEP_3)
	v_add_nc_u32_e32 v13, 0xc00, v10
	v_fma_f32 v6, -0.5, v6, v51
	s_delay_alu instid0(VALU_DEP_1) | instskip(NEXT) | instid1(VALU_DEP_1)
	v_dual_add_f32 v11, v51, v19 :: v_dual_fmamk_f32 v14, v12, 0xbf5db3d7, v6
	v_dual_add_f32 v11, v11, v39 :: v_dual_fmac_f32 v6, 0x3f5db3d7, v12
	ds_store_2addr_b32 v13, v11, v6 offset0:12 offset1:77
	ds_store_b32 v10, v14 offset:3640
.LBB0_24:
	s_wait_alu 0xfffe
	s_or_b32 exec_lo, exec_lo, s1
	v_dual_add_f32 v6, v80, v78 :: v_dual_sub_f32 v11, v81, v83
	v_add_f32_e32 v10, v67, v80
	v_dual_add_f32 v12, v82, v79 :: v_dual_sub_f32 v13, v84, v85
	s_delay_alu instid0(VALU_DEP_3) | instskip(SKIP_1) | instid1(VALU_DEP_4)
	v_fmac_f32_e32 v67, -0.5, v6
	v_add_f32_e32 v6, v35, v82
	v_add_f32_e32 v40, v10, v78
	;; [unrolled: 1-line block ×3, first 2 shown]
	v_fma_f32 v42, -0.5, v12, v35
	v_fmamk_f32 v44, v11, 0xbf5db3d7, v67
	v_fmac_f32_e32 v67, 0x3f5db3d7, v11
	s_delay_alu instid0(VALU_DEP_4) | instskip(SKIP_3) | instid1(VALU_DEP_4)
	v_dual_add_f32 v11, v36, v76 :: v_dual_fmac_f32 v36, -0.5, v10
	v_sub_f32_e32 v10, v75, v48
	v_add_f32_e32 v12, v77, v50
	v_fmamk_f32 v46, v13, 0xbf5db3d7, v42
	v_dual_add_f32 v48, v11, v32 :: v_dual_add_f32 v11, v33, v77
	v_add_f32_e32 v6, v6, v79
	s_delay_alu instid0(VALU_DEP_4) | instskip(SKIP_1) | instid1(VALU_DEP_4)
	v_fma_f32 v49, -0.5, v12, v33
	v_sub_f32_e32 v12, v47, v45
	v_dual_fmac_f32 v42, 0x3f5db3d7, v13 :: v_dual_add_f32 v47, v11, v50
	v_add_f32_e32 v11, v34, v28
	v_sub_f32_e32 v8, v17, v8
	s_delay_alu instid0(VALU_DEP_4) | instskip(SKIP_1) | instid1(VALU_DEP_4)
	v_fmamk_f32 v50, v12, 0xbf5db3d7, v49
	v_dual_fmac_f32 v49, 0x3f5db3d7, v12 :: v_dual_add_f32 v12, v29, v27
	v_add_f32_e32 v51, v11, v7
	v_sub_f32_e32 v11, v21, v41
	v_fmamk_f32 v45, v10, 0xbf5db3d7, v36
	v_fmac_f32_e32 v36, 0x3f5db3d7, v10
	v_dual_add_f32 v10, v28, v7 :: v_dual_add_f32 v7, v37, v29
	v_fma_f32 v37, -0.5, v12, v37
	v_dual_add_f32 v12, v31, v24 :: v_dual_add_nc_u32 v29, 0x600, v55
	v_add_nc_u32_e32 v28, 0xc00, v55
	s_delay_alu instid0(VALU_DEP_4) | instskip(SKIP_4) | instid1(VALU_DEP_4)
	v_add_f32_e32 v53, v7, v27
	v_add_f32_e32 v7, v23, v9
	v_fmamk_f32 v54, v11, 0xbf5db3d7, v37
	v_fmac_f32_e32 v37, 0x3f5db3d7, v11
	v_dual_add_f32 v11, v38, v23 :: v_dual_fmac_f32 v34, -0.5, v10
	v_dual_fmac_f32 v38, -0.5, v7 :: v_dual_sub_f32 v7, v15, v20
	s_delay_alu instid0(VALU_DEP_2) | instskip(SKIP_2) | instid1(VALU_DEP_4)
	v_dual_sub_f32 v10, v25, v26 :: v_dual_add_f32 v57, v11, v9
	v_add_nc_u32_e32 v17, 0x400, v55
	v_add_nc_u32_e32 v20, 0x800, v55
	v_fmamk_f32 v61, v7, 0xbf5db3d7, v38
	s_delay_alu instid0(VALU_DEP_4)
	v_fmamk_f32 v41, v10, 0xbf5db3d7, v34
	v_fmac_f32_e32 v34, 0x3f5db3d7, v10
	v_add_f32_e32 v10, v24, v18
	global_wb scope:SCOPE_SE
	s_wait_dscnt 0x0
	s_barrier_signal -1
	s_barrier_wait -1
	global_inv scope:SCOPE_SE
	v_dual_fmac_f32 v31, -0.5, v10 :: v_dual_fmac_f32 v38, 0x3f5db3d7, v7
	v_dual_add_f32 v66, v12, v18 :: v_dual_add_nc_u32 v7, 0xa00, v55
	v_add_nc_u32_e32 v75, 0x200, v64
	s_delay_alu instid0(VALU_DEP_3)
	v_fmamk_f32 v68, v8, 0xbf5db3d7, v31
	v_fmac_f32_e32 v31, 0x3f5db3d7, v8
	ds_load_b32 v35, v0
	ds_load_2addr_b32 v[11:12], v55 offset0:195 offset1:234
	ds_load_2addr_b32 v[24:25], v17 offset0:95 offset1:134
	ds_load_2addr_b32 v[9:10], v20 offset0:73 offset1:112
	ds_load_2addr_b32 v[26:27], v7 offset0:101 offset1:140
	ds_load_2addr_b32 v[7:8], v55 offset0:39 offset1:78
	ds_load_2addr_b32 v[13:14], v17 offset0:173 offset1:212
	ds_load_2addr_b32 v[15:16], v28 offset0:51 offset1:90
	ds_load_2addr_b32 v[17:18], v17 offset0:17 offset1:56
	ds_load_2addr_b32 v[22:23], v20 offset0:151 offset1:190
	ds_load_2addr_b32 v[20:21], v55 offset0:117 offset1:156
	ds_load_2addr_b32 v[32:33], v29 offset0:123 offset1:162
	ds_load_2addr_b32 v[28:29], v28 offset0:129 offset1:168
	global_wb scope:SCOPE_SE
	s_wait_dscnt 0x0
	s_barrier_signal -1
	s_barrier_wait -1
	global_inv scope:SCOPE_SE
	ds_store_2addr_b32 v55, v40, v44 offset1:65
	ds_store_b32 v55, v67 offset:520
	ds_store_2addr_b32 v71, v6, v46 offset1:65
	ds_store_b32 v71, v42 offset:520
	ds_store_2addr_b32 v75, v48, v45 offset0:67 offset1:132
	v_add_nc_u32_e32 v6, 0x400, v65
	v_add_nc_u32_e32 v40, 0x800, v72
	ds_store_b32 v64, v36 offset:1300
	ds_store_2addr_b32 v70, v47, v50 offset1:65
	ds_store_b32 v70, v49 offset:520
	ds_store_2addr_b32 v6, v51, v41 offset0:134 offset1:199
	ds_store_2addr_b32 v40, v53, v54 offset0:73 offset1:138
	v_add_nc_u32_e32 v6, 0xc00, v73
	ds_store_b32 v65, v34 offset:2080
	ds_store_b32 v72, v37 offset:2860
	ds_store_2addr_b32 v74, v57, v61 offset1:65
	ds_store_b32 v74, v38 offset:520
	ds_store_2addr_b32 v6, v66, v68 offset0:12 offset1:77
	ds_store_b32 v73, v31 offset:3640
	s_and_saveexec_b32 s1, s0
	s_cbranch_execz .LBB0_26
; %bb.25:
	v_dual_add_f32 v6, v43, v30 :: v_dual_add_f32 v31, v52, v43
	v_sub_f32_e32 v19, v19, v39
	v_add3_u32 v34, 0, v69, v59
	s_delay_alu instid0(VALU_DEP_3) | instskip(NEXT) | instid1(VALU_DEP_4)
	v_fmac_f32_e32 v52, -0.5, v6
	v_add_f32_e32 v6, v31, v30
	s_delay_alu instid0(VALU_DEP_3) | instskip(NEXT) | instid1(VALU_DEP_3)
	v_add_nc_u32_e32 v30, 0xc00, v34
	v_fmamk_f32 v31, v19, 0xbf5db3d7, v52
	v_fmamk_f32 v19, v19, 0x3f5db3d7, v52
	ds_store_2addr_b32 v30, v6, v31 offset0:12 offset1:77
	ds_store_b32 v34, v19 offset:3640
.LBB0_26:
	s_wait_alu 0xfffe
	s_or_b32 exec_lo, exec_lo, s1
	global_wb scope:SCOPE_SE
	s_wait_dscnt 0x0
	s_barrier_signal -1
	s_barrier_wait -1
	global_inv scope:SCOPE_SE
	s_and_saveexec_b32 s0, vcc_lo
	s_cbranch_execz .LBB0_28
; %bb.27:
	v_dual_mov_b32 v31, 0 :: v_dual_lshlrev_b32 v30, 2, v63
	v_mul_lo_u32 v19, s3, v3
	v_mul_lo_u32 v34, s2, v4
	v_mad_co_u64_u32 v[52:53], null, s2, v3, 0
	s_delay_alu instid0(VALU_DEP_4) | instskip(SKIP_2) | instid1(VALU_DEP_4)
	v_lshlrev_b64_e32 v[36:37], 3, v[30:31]
	v_dual_mov_b32 v6, v31 :: v_dual_add_nc_u32 v91, 0x400, v55
	v_mul_hi_u32 v97, 0x50150151, v58
	v_add3_u32 v53, v53, v34, v19
	s_delay_alu instid0(VALU_DEP_4)
	v_add_co_u32 v40, vcc_lo, s8, v36
	s_wait_alu 0xfffd
	v_add_co_ci_u32_e32 v41, vcc_lo, s9, v37, vcc_lo
	v_lshlrev_b64_e32 v[5:6], 3, v[5:6]
	v_lshlrev_b64_e32 v[52:53], 3, v[52:53]
	s_clause 0x1
	global_load_b128 v[36:39], v[40:41], off offset:1456
	global_load_b128 v[40:43], v[40:41], off offset:1472
	v_lshlrev_b32_e32 v30, 2, v62
	s_wait_loadcnt 0x1
	v_dual_mul_f32 v34, v24, v37 :: v_dual_add_nc_u32 v93, 0xc00, v55
	v_mul_f32_e32 v19, v33, v39
	s_delay_alu instid0(VALU_DEP_3) | instskip(SKIP_3) | instid1(VALU_DEP_3)
	v_lshlrev_b64_e32 v[44:45], 3, v[30:31]
	s_wait_loadcnt 0x0
	v_dual_mul_f32 v99, v29, v43 :: v_dual_lshlrev_b32 v30, 2, v60
	v_mul_f32_e32 v98, v26, v41
	v_add_co_u32 v48, vcc_lo, s8, v44
	s_wait_alu 0xfffd
	v_add_co_ci_u32_e32 v49, vcc_lo, s9, v45, vcc_lo
	v_add_co_u32 v5, vcc_lo, s8, v5
	s_wait_alu 0xfffd
	v_add_co_ci_u32_e32 v6, vcc_lo, s9, v6, vcc_lo
	s_clause 0x3
	global_load_b128 v[44:47], v[48:49], off offset:1472
	global_load_b128 v[48:51], v[48:49], off offset:1456
	;; [unrolled: 1-line block ×4, first 2 shown]
	v_lshlrev_b64_e32 v[5:6], 3, v[30:31]
	v_lshlrev_b32_e32 v30, 2, v56
	s_delay_alu instid0(VALU_DEP_2) | instskip(SKIP_1) | instid1(VALU_DEP_3)
	v_add_co_u32 v5, vcc_lo, s8, v5
	s_wait_alu 0xfffd
	v_add_co_ci_u32_e32 v6, vcc_lo, s9, v6, vcc_lo
	s_clause 0x1
	global_load_b128 v[69:72], v[5:6], off offset:1456
	global_load_b128 v[73:76], v[5:6], off offset:1472
	v_lshlrev_b64_e32 v[5:6], 3, v[30:31]
	v_add_nc_u32_e32 v30, 0x600, v55
	v_add_nc_u32_e32 v31, 0xa00, v55
	s_delay_alu instid0(VALU_DEP_3) | instskip(SKIP_1) | instid1(VALU_DEP_4)
	v_add_co_u32 v5, vcc_lo, s8, v5
	s_wait_alu 0xfffd
	v_add_co_ci_u32_e32 v6, vcc_lo, s9, v6, vcc_lo
	s_clause 0x1
	global_load_b128 v[77:80], v[5:6], off offset:1456
	global_load_b128 v[81:84], v[5:6], off offset:1472
	ds_load_2addr_b32 v[3:4], v91 offset0:95 offset1:134
	ds_load_2addr_b32 v[5:6], v93 offset0:129 offset1:168
	ds_load_2addr_b32 v[56:57], v30 offset0:123 offset1:162
	ds_load_2addr_b32 v[59:60], v31 offset0:101 offset1:140
	ds_load_2addr_b32 v[85:86], v55 offset0:117 offset1:156
	v_add_nc_u32_e32 v95, 0x800, v55
	ds_load_2addr_b32 v[30:31], v55 offset0:39 offset1:78
	ds_load_2addr_b32 v[54:55], v55 offset0:195 offset1:234
	ds_load_b32 v0, v0
	s_wait_dscnt 0x7
	v_fmac_f32_e32 v34, v3, v36
	ds_load_2addr_b32 v[87:88], v91 offset0:17 offset1:56
	ds_load_2addr_b32 v[89:90], v95 offset0:151 offset1:190
	;; [unrolled: 1-line block ×5, first 2 shown]
	v_mul_f32_e32 v37, v3, v37
	s_wait_dscnt 0x9
	v_dual_mul_f32 v43, v6, v43 :: v_dual_fmac_f32 v98, v59, v40
	v_mul_f32_e32 v39, v57, v39
	v_mul_f32_e32 v41, v59, v41
	v_fmac_f32_e32 v19, v57, v38
	v_fmac_f32_e32 v99, v6, v42
	v_fma_f32 v3, v24, v36, -v37
	v_fma_f32 v24, v29, v42, -v43
	;; [unrolled: 1-line block ×3, first 2 shown]
	s_wait_dscnt 0x8
	v_add_f32_e32 v104, v34, v86
	s_delay_alu instid0(VALU_DEP_3) | instskip(NEXT) | instid1(VALU_DEP_3)
	v_dual_add_f32 v112, v21, v3 :: v_dual_sub_f32 v57, v3, v24
	v_sub_f32_e32 v106, v26, v24
	s_wait_loadcnt 0x7
	v_dual_sub_f32 v110, v24, v26 :: v_dual_mul_f32 v37, v23, v45
	s_wait_loadcnt 0x6
	v_mul_f32_e32 v36, v32, v51
	v_mul_f32_e32 v6, v56, v51
	s_wait_loadcnt 0x5
	v_mul_f32_e32 v100, v25, v64
	s_wait_dscnt 0x4
	v_mul_f32_e32 v40, v88, v49
	v_fma_f32 v29, v33, v38, -v39
	v_dual_mul_f32 v33, v18, v49 :: v_dual_mul_f32 v38, v28, v47
	s_wait_loadcnt_dscnt 0x403
	v_dual_mul_f32 v39, v90, v45 :: v_dual_mul_f32 v102, v9, v66
	v_dual_mul_f32 v41, v5, v47 :: v_dual_mul_f32 v42, v4, v64
	v_mul_f32_e32 v59, v11, v62
	v_dual_mul_f32 v101, v27, v68 :: v_dual_sub_f32 v64, v29, v26
	s_wait_dscnt 0x0
	v_dual_mul_f32 v43, v95, v66 :: v_dual_sub_f32 v66, v34, v19
	v_mul_f32_e32 v45, v54, v62
	v_dual_mul_f32 v47, v60, v68 :: v_dual_sub_f32 v68, v99, v98
	v_sub_f32_e32 v49, v19, v34
	v_dual_sub_f32 v51, v98, v99 :: v_dual_sub_f32 v108, v19, v98
	v_dual_add_f32 v62, v34, v99 :: v_dual_add_f32 v103, v19, v98
	v_sub_f32_e32 v105, v29, v3
	v_dual_add_f32 v107, v3, v24 :: v_dual_fmac_f32 v36, v56, v50
	v_dual_sub_f32 v109, v34, v99 :: v_dual_fmac_f32 v38, v5, v46
	v_dual_sub_f32 v34, v3, v29 :: v_dual_add_f32 v111, v29, v26
	v_fmac_f32_e32 v33, v88, v48
	v_fmac_f32_e32 v37, v90, v44
	v_fma_f32 v32, v32, v50, -v6
	v_fma_f32 v39, v23, v44, -v39
	;; [unrolled: 1-line block ×3, first 2 shown]
	s_wait_loadcnt 0x2
	v_mul_f32_e32 v48, v89, v74
	v_fma_f32 v40, v28, v46, -v41
	v_dual_mul_f32 v28, v17, v70 :: v_dual_mul_f32 v41, v14, v72
	v_mul_f32_e32 v50, v87, v70
	v_mul_f32_e32 v44, v16, v76
	v_dual_mul_f32 v46, v22, v74 :: v_dual_mul_f32 v23, v92, v72
	v_dual_mul_f32 v56, v94, v76 :: v_dual_fmac_f32 v101, v60, v67
	v_dual_fmac_f32 v59, v54, v61 :: v_dual_fmac_f32 v100, v4, v63
	v_fmac_f32_e32 v102, v95, v65
	v_fma_f32 v60, v25, v63, -v42
	v_add_f32_e32 v25, v49, v51
	v_fma_f32 v63, v9, v65, -v43
	v_fma_f32 v61, v11, v61, -v45
	;; [unrolled: 1-line block ×3, first 2 shown]
	v_fma_f32 v4, -0.5, v62, v86
	v_fma_f32 v6, -0.5, v103, v86
	v_add_f32_e32 v9, v19, v104
	v_fma_f32 v3, -0.5, v107, v21
	v_dual_add_f32 v43, v34, v110 :: v_dual_add_f32 v54, v32, v39
	v_fma_f32 v5, -0.5, v111, v21
	v_add_f32_e32 v11, v29, v112
	v_dual_sub_f32 v21, v33, v36 :: v_dual_sub_f32 v72, v32, v18
	v_dual_sub_f32 v29, v38, v37 :: v_dual_sub_f32 v62, v33, v38
	v_dual_sub_f32 v47, v18, v40 :: v_dual_add_f32 v70, v33, v38
	v_dual_add_f32 v34, v36, v37 :: v_dual_sub_f32 v49, v18, v32
	v_add_f32_e32 v86, v20, v18
	v_dual_sub_f32 v51, v40, v39 :: v_dual_sub_f32 v74, v39, v40
	v_dual_sub_f32 v67, v36, v33 :: v_dual_add_f32 v76, v18, v40
	v_dual_add_f32 v33, v33, v85 :: v_dual_fmac_f32 v44, v94, v75
	v_dual_fmac_f32 v28, v87, v69 :: v_dual_fmac_f32 v41, v92, v71
	v_fmac_f32_e32 v46, v89, v73
	v_fma_f32 v71, v14, v71, -v23
	v_fma_f32 v48, v22, v73, -v48
	s_wait_loadcnt 0x0
	v_mul_f32_e32 v73, v15, v84
	v_fma_f32 v14, v17, v69, -v50
	v_fma_f32 v50, v16, v75, -v56
	v_dual_mul_f32 v56, v12, v78 :: v_dual_mul_f32 v69, v13, v80
	v_dual_mul_f32 v75, v10, v82 :: v_dual_mul_f32 v84, v93, v84
	v_dual_mul_f32 v78, v55, v78 :: v_dual_sub_f32 v89, v60, v63
	v_dual_mul_f32 v80, v91, v80 :: v_dual_add_f32 v95, v60, v63
	v_dual_mul_f32 v82, v96, v82 :: v_dual_sub_f32 v87, v59, v100
	v_dual_add_f32 v27, v66, v68 :: v_dual_add_f32 v42, v105, v106
	v_dual_sub_f32 v45, v32, v39 :: v_dual_sub_f32 v68, v37, v38
	v_sub_f32_e32 v66, v36, v37
	v_dual_sub_f32 v88, v101, v102 :: v_dual_sub_f32 v103, v59, v101
	v_dual_sub_f32 v90, v61, v65 :: v_dual_fmamk_f32 v19, v64, 0xbf737871, v4
	v_dual_add_f32 v92, v100, v102 :: v_dual_fmamk_f32 v17, v57, 0x3f737871, v6
	v_dual_sub_f32 v94, v61, v60 :: v_dual_add_f32 v9, v98, v9
	v_fmac_f32_e32 v4, 0x3f737871, v64
	v_fmac_f32_e32 v6, 0xbf737871, v57
	v_dual_fmamk_f32 v18, v108, 0x3f737871, v3 :: v_dual_add_f32 v11, v11, v26
	v_fmac_f32_e32 v3, 0xbf737871, v108
	v_fmamk_f32 v16, v109, 0xbf737871, v5
	v_fmac_f32_e32 v5, 0x3f737871, v109
	v_dual_add_f32 v98, v21, v29 :: v_dual_add_f32 v29, v86, v32
	v_fma_f32 v23, -0.5, v34, v85
	v_add_f32_e32 v49, v49, v51
	v_fma_f32 v22, -0.5, v54, v20
	v_add_f32_e32 v54, v72, v74
	v_fma_f32 v21, -0.5, v70, v85
	v_fma_f32 v20, -0.5, v76, v20
	v_add_f32_e32 v26, v36, v33
	v_dual_sub_f32 v32, v28, v41 :: v_dual_sub_f32 v105, v46, v44
	v_dual_sub_f32 v36, v44, v46 :: v_dual_fmac_f32 v69, v91, v79
	v_dual_add_f32 v70, v41, v46 :: v_dual_fmac_f32 v75, v96, v81
	v_dual_sub_f32 v72, v14, v71 :: v_dual_sub_f32 v107, v71, v14
	v_dual_sub_f32 v74, v50, v48 :: v_dual_add_f32 v113, v8, v14
	v_dual_add_f32 v76, v71, v48 :: v_dual_add_f32 v111, v14, v50
	v_dual_add_f32 v106, v28, v44 :: v_dual_fmac_f32 v73, v93, v83
	v_dual_sub_f32 v110, v48, v50 :: v_dual_fmac_f32 v17, 0x3f167918, v64
	v_dual_add_f32 v112, v28, v31 :: v_dual_fmac_f32 v3, 0x3f167918, v109
	v_dual_fmac_f32 v56, v55, v77 :: v_dual_fmac_f32 v5, 0x3f167918, v108
	v_fma_f32 v55, v12, v77, -v78
	v_fma_f32 v15, v15, v83, -v84
	;; [unrolled: 1-line block ×4, first 2 shown]
	v_add_f32_e32 v51, v67, v68
	v_dual_sub_f32 v67, v71, v48 :: v_dual_sub_f32 v68, v14, v50
	v_dual_sub_f32 v85, v28, v44 :: v_dual_sub_f32 v86, v41, v46
	v_add_f32_e32 v79, v87, v88
	v_dual_sub_f32 v104, v41, v28 :: v_dual_fmac_f32 v19, 0x3f167918, v57
	v_fma_f32 v34, -0.5, v92, v0
	v_fma_f32 v33, -0.5, v95, v35
	v_fmac_f32_e32 v4, 0xbf167918, v57
	v_dual_fmac_f32 v6, 0xbf167918, v64 :: v_dual_add_f32 v57, v72, v74
	v_add_f32_e32 v10, v99, v9
	v_dual_fmac_f32 v18, 0xbf167918, v109 :: v_dual_add_f32 v9, v11, v24
	v_dual_fmamk_f32 v12, v47, 0x3f737871, v23 :: v_dual_fmamk_f32 v13, v66, 0x3f737871, v20
	v_dual_fmamk_f32 v11, v62, 0xbf737871, v22 :: v_dual_fmamk_f32 v14, v45, 0xbf737871, v21
	v_sub_f32_e32 v81, v55, v77
	v_dual_fmac_f32 v21, 0x3f737871, v45 :: v_dual_fmac_f32 v22, 0x3f737871, v62
	v_dual_fmac_f32 v20, 0xbf737871, v66 :: v_dual_fmac_f32 v23, 0xbf737871, v47
	v_dual_add_f32 v24, v37, v26 :: v_dual_add_f32 v91, v7, v55
	v_dual_add_f32 v26, v29, v39 :: v_dual_sub_f32 v93, v75, v73
	v_dual_add_f32 v36, v32, v36 :: v_dual_add_f32 v83, v77, v78
	v_fma_f32 v29, -0.5, v70, v31
	v_fma_f32 v28, -0.5, v76, v8
	;; [unrolled: 1-line block ×3, first 2 shown]
	v_dual_add_f32 v70, v107, v110 :: v_dual_sub_f32 v95, v77, v55
	v_fma_f32 v31, -0.5, v111, v8
	v_add_f32_e32 v8, v41, v112
	v_add_f32_e32 v41, v113, v71
	v_dual_add_f32 v74, v69, v75 :: v_dual_fmac_f32 v19, 0x3e9e377a, v25
	v_dual_sub_f32 v76, v55, v15 :: v_dual_fmac_f32 v3, 0x3e9e377a, v42
	v_dual_add_f32 v88, v56, v30 :: v_dual_fmac_f32 v21, 0xbf167918, v47
	v_dual_add_f32 v55, v55, v15 :: v_dual_fmac_f32 v16, 0xbf167918, v108
	v_sub_f32_e32 v71, v56, v69
	v_dual_add_f32 v64, v104, v105 :: v_dual_sub_f32 v87, v69, v75
	v_dual_sub_f32 v72, v73, v75 :: v_dual_fmamk_f32 v37, v90, 0x3f737871, v34
	v_dual_sub_f32 v84, v56, v73 :: v_dual_fmac_f32 v11, 0xbf167918, v66
	v_dual_sub_f32 v92, v69, v56 :: v_dual_fmac_f32 v13, 0xbf167918, v62
	v_add_f32_e32 v56, v56, v73
	v_dual_sub_f32 v96, v78, v15 :: v_dual_fmac_f32 v23, 0xbf167918, v45
	v_fmac_f32_e32 v4, 0x3e9e377a, v25
	v_fmac_f32_e32 v6, 0x3e9e377a, v27
	;; [unrolled: 1-line block ×3, first 2 shown]
	v_dual_fmac_f32 v14, 0x3f167918, v47 :: v_dual_fmac_f32 v37, 0x3f167918, v89
	v_dual_add_f32 v25, v38, v24 :: v_dual_add_f32 v24, v40, v26
	v_dual_fmamk_f32 v39, v67, 0xbf737871, v32 :: v_dual_add_f32 v8, v46, v8
	v_dual_add_f32 v42, v41, v48 :: v_dual_fmac_f32 v13, 0x3e9e377a, v54
	v_fma_f32 v41, -0.5, v74, v30
	v_fma_f32 v40, -0.5, v83, v7
	v_dual_add_f32 v46, v69, v88 :: v_dual_fmac_f32 v23, 0x3e9e377a, v98
	v_add_f32_e32 v47, v91, v77
	v_dual_fmac_f32 v7, -0.5, v55 :: v_dual_sub_f32 v80, v77, v78
	v_dual_fmac_f32 v17, 0x3e9e377a, v27 :: v_dual_sub_f32 v82, v15, v78
	v_fmac_f32_e32 v5, 0x3e9e377a, v43
	v_dual_fmac_f32 v16, 0x3e9e377a, v43 :: v_dual_fmac_f32 v11, 0x3e9e377a, v49
	v_dual_fmac_f32 v22, 0x3f167918, v66 :: v_dual_add_f32 v43, v44, v8
	v_dual_fmamk_f32 v27, v68, 0x3f737871, v29 :: v_dual_fmac_f32 v32, 0x3f737871, v67
	v_fmac_f32_e32 v12, 0x3f167918, v45
	v_dual_fmamk_f32 v26, v85, 0xbf737871, v28 :: v_dual_fmac_f32 v29, 0xbf737871, v68
	v_fmac_f32_e32 v28, 0x3f737871, v85
	v_fmamk_f32 v45, v76, 0xbf737871, v41
	v_dual_fmac_f32 v41, 0x3f737871, v76 :: v_dual_add_f32 v8, v75, v46
	v_add_f32_e32 v48, v47, v78
	v_fmamk_f32 v46, v87, 0x3f737871, v7
	v_fmac_f32_e32 v7, 0xbf737871, v87
	v_fmamk_f32 v38, v86, 0x3f737871, v31
	v_dual_fmac_f32 v31, 0xbf737871, v86 :: v_dual_fmac_f32 v30, -0.5, v56
	v_add_f32_e32 v56, v95, v96
	v_fmac_f32_e32 v41, 0x3f167918, v80
	v_dual_add_f32 v48, v15, v48 :: v_dual_fmac_f32 v37, 0x3e9e377a, v79
	v_sub_nc_u32_e32 v15, v58, v97
	v_dual_fmac_f32 v20, 0x3f167918, v62 :: v_dual_fmac_f32 v39, 0x3f167918, v68
	v_dual_add_f32 v62, v71, v72 :: v_dual_fmac_f32 v21, 0x3e9e377a, v51
	s_delay_alu instid0(VALU_DEP_3) | instskip(SKIP_3) | instid1(VALU_DEP_4)
	v_lshrrev_b32_e32 v15, 1, v15
	v_dual_add_f32 v66, v81, v82 :: v_dual_fmac_f32 v29, 0xbf167918, v67
	v_fmac_f32_e32 v27, 0x3f167918, v67
	v_dual_fmac_f32 v26, 0xbf167918, v86 :: v_dual_fmac_f32 v45, 0xbf167918, v80
	v_dual_fmac_f32 v32, 0xbf167918, v68 :: v_dual_add_nc_u32 v15, v15, v97
	s_delay_alu instid0(VALU_DEP_3)
	v_dual_fmac_f32 v12, 0x3e9e377a, v98 :: v_dual_fmac_f32 v27, 0x3e9e377a, v36
	v_dual_fmac_f32 v20, 0x3e9e377a, v54 :: v_dual_fmac_f32 v29, 0x3e9e377a, v36
	v_dual_fmac_f32 v31, 0x3f167918, v85 :: v_dual_add_f32 v42, v50, v42
	v_fmamk_f32 v47, v80, 0xbf737871, v30
	v_dual_fmac_f32 v26, 0x3e9e377a, v57 :: v_dual_fmac_f32 v45, 0x3e9e377a, v62
	v_dual_fmac_f32 v32, 0x3e9e377a, v64 :: v_dual_fmac_f32 v41, 0x3e9e377a, v62
	v_fmamk_f32 v36, v103, 0xbf737871, v33
	v_dual_sub_f32 v62, v100, v102 :: v_dual_fmac_f32 v33, 0x3f737871, v103
	v_add_f32_e32 v50, v59, v101
	v_lshrrev_b32_e32 v15, 7, v15
	v_dual_fmac_f32 v14, 0x3e9e377a, v51 :: v_dual_fmac_f32 v39, 0x3e9e377a, v64
	v_dual_fmac_f32 v28, 0x3f167918, v86 :: v_dual_fmac_f32 v47, 0x3f167918, v76
	v_fmac_f32_e32 v46, 0xbf167918, v84
	v_fmac_f32_e32 v7, 0x3f167918, v84
	;; [unrolled: 1-line block ×3, first 2 shown]
	v_fma_f32 v51, -0.5, v50, v0
	v_mul_lo_u32 v15, 0xc3, v15
	v_dual_fmac_f32 v22, 0x3e9e377a, v49 :: v_dual_fmac_f32 v31, 0x3e9e377a, v70
	v_fmamk_f32 v44, v84, 0x3f737871, v40
	v_fmac_f32_e32 v30, 0x3f737871, v80
	v_dual_fmac_f32 v40, 0xbf737871, v84 :: v_dual_fmamk_f32 v55, v89, 0xbf737871, v51
	v_add_f32_e32 v49, v73, v8
	v_fmac_f32_e32 v46, 0x3e9e377a, v56
	v_sub_f32_e32 v8, v65, v63
	v_dual_fmac_f32 v28, 0x3e9e377a, v57 :: v_dual_fmac_f32 v7, 0x3e9e377a, v56
	v_dual_sub_f32 v56, v100, v59 :: v_dual_sub_f32 v57, v102, v101
	v_fmac_f32_e32 v51, 0x3f737871, v89
	v_add_f32_e32 v69, v92, v93
	v_fmac_f32_e32 v38, 0xbf167918, v85
	v_dual_fmac_f32 v44, 0x3f167918, v87 :: v_dual_fmac_f32 v55, 0x3f167918, v90
	v_fmac_f32_e32 v30, 0xbf167918, v76
	v_dual_add_f32 v56, v56, v57 :: v_dual_fmac_f32 v51, 0xbf167918, v90
	v_sub_nc_u32_e32 v15, v58, v15
	v_add_f32_e32 v54, v61, v65
	s_delay_alu instid0(VALU_DEP_3) | instskip(NEXT) | instid1(VALU_DEP_4)
	v_dual_fmac_f32 v44, 0x3e9e377a, v66 :: v_dual_fmac_f32 v55, 0x3e9e377a, v56
	v_fmac_f32_e32 v51, 0x3e9e377a, v56
	s_delay_alu instid0(VALU_DEP_4) | instskip(NEXT) | instid1(VALU_DEP_4)
	v_mad_co_u64_u32 v[56:57], null, s16, v15, 0
	v_fma_f32 v50, -0.5, v54, v35
	v_add_f32_e32 v35, v35, v61
	v_fmac_f32_e32 v30, 0x3e9e377a, v69
	v_add_f32_e32 v0, v59, v0
	v_fmac_f32_e32 v40, 0xbf167918, v87
	s_delay_alu instid0(VALU_DEP_4) | instskip(NEXT) | instid1(VALU_DEP_3)
	v_dual_sub_f32 v64, v60, v61 :: v_dual_add_f32 v35, v35, v60
	v_dual_fmamk_f32 v54, v62, 0x3f737871, v50 :: v_dual_add_f32 v59, v100, v0
	v_mov_b32_e32 v0, v57
	v_fmac_f32_e32 v50, 0xbf737871, v62
	v_dual_fmac_f32 v38, 0x3e9e377a, v70 :: v_dual_fmac_f32 v47, 0x3e9e377a, v69
	s_delay_alu instid0(VALU_DEP_4) | instskip(NEXT) | instid1(VALU_DEP_4)
	v_add_f32_e32 v57, v102, v59
	v_mad_co_u64_u32 v[59:60], null, s17, v15, v[0:1]
	v_add_f32_e32 v8, v94, v8
	v_dual_add_f32 v0, v35, v63 :: v_dual_add_nc_u32 v35, 39, v58
	s_delay_alu instid0(VALU_DEP_4) | instskip(NEXT) | instid1(VALU_DEP_4)
	v_dual_fmac_f32 v36, 0xbf167918, v62 :: v_dual_add_f32 v61, v101, v57
	v_dual_mov_b32 v57, v59 :: v_dual_add_nc_u32 v70, 0x249, v15
	s_delay_alu instid0(VALU_DEP_4) | instskip(NEXT) | instid1(VALU_DEP_3)
	v_dual_fmac_f32 v40, 0x3e9e377a, v66 :: v_dual_fmac_f32 v33, 0x3e9e377a, v8
	v_fmac_f32_e32 v36, 0x3e9e377a, v8
	v_add_nc_u32_e32 v8, 0xc3, v15
	v_add_f32_e32 v60, v65, v0
	v_lshlrev_b64_e32 v[0:1], 3, v[1:2]
	v_sub_f32_e32 v66, v63, v65
	v_add_co_u32 v2, vcc_lo, s6, v52
	v_mad_co_u64_u32 v[62:63], null, s16, v8, 0
	v_mul_hi_u32 v59, 0x50150151, v35
	s_wait_alu 0xfffd
	v_add_co_ci_u32_e32 v52, vcc_lo, s7, v53, vcc_lo
	v_add_co_u32 v68, vcc_lo, v2, v0
	v_add_f32_e32 v64, v64, v66
	s_wait_alu 0xfffd
	s_delay_alu instid0(VALU_DEP_3)
	v_add_co_ci_u32_e32 v69, vcc_lo, v52, v1, vcc_lo
	v_lshlrev_b64_e32 v[1:2], 3, v[56:57]
	v_mov_b32_e32 v0, v63
	v_sub_nc_u32_e32 v63, v35, v59
	v_add_nc_u32_e32 v66, 0x186, v15
	v_fmac_f32_e32 v54, 0xbf167918, v103
	v_fmac_f32_e32 v50, 0x3f167918, v103
	v_mad_co_u64_u32 v[52:53], null, s17, v8, v[0:1]
	v_lshrrev_b32_e32 v8, 1, v63
	v_mad_co_u64_u32 v[56:57], null, s16, v66, 0
	v_add_nc_u32_e32 v15, 0x30c, v15
	v_add_co_u32 v0, vcc_lo, v68, v1
	s_delay_alu instid0(VALU_DEP_4)
	v_add_nc_u32_e32 v8, v8, v59
	v_mov_b32_e32 v63, v52
	v_mad_co_u64_u32 v[52:53], null, s16, v70, 0
	s_wait_alu 0xfffd
	v_add_co_ci_u32_e32 v1, vcc_lo, v69, v2, vcc_lo
	v_mov_b32_e32 v2, v57
	v_fmac_f32_e32 v54, 0x3e9e377a, v64
	v_fmac_f32_e32 v50, 0x3e9e377a, v64
	v_lshrrev_b32_e32 v59, 7, v8
	v_mad_co_u64_u32 v[64:65], null, s16, v15, 0
	v_fmac_f32_e32 v34, 0xbf737871, v90
	v_mad_co_u64_u32 v[66:67], null, s17, v66, v[2:3]
	v_mov_b32_e32 v2, v53
	v_mul_lo_u32 v53, 0xc3, v59
	v_lshlrev_b64_e32 v[62:63], 3, v[62:63]
	v_mov_b32_e32 v8, v65
	v_dual_fmac_f32 v34, 0xbf167918, v89 :: v_dual_mov_b32 v57, v66
	v_mad_co_u64_u32 v[65:66], null, s17, v70, v[2:3]
	s_delay_alu instid0(VALU_DEP_4) | instskip(NEXT) | instid1(VALU_DEP_4)
	v_add_co_u32 v62, vcc_lo, v68, v62
	v_mad_co_u64_u32 v[66:67], null, s17, v15, v[8:9]
	v_sub_nc_u32_e32 v2, v35, v53
	v_fmac_f32_e32 v34, 0x3e9e377a, v79
	s_wait_alu 0xfffd
	v_add_co_ci_u32_e32 v63, vcc_lo, v69, v63, vcc_lo
	s_clause 0x1
	global_store_b64 v[0:1], v[60:61], off
	global_store_b64 v[62:63], v[33:34], off
	v_mad_co_u64_u32 v[33:34], null, 0x3cf, v59, v[2:3]
	v_mov_b32_e32 v53, v65
	v_mov_b32_e32 v65, v66
	v_lshlrev_b64_e32 v[0:1], 3, v[56:57]
	s_delay_alu instid0(VALU_DEP_3) | instskip(SKIP_1) | instid1(VALU_DEP_4)
	v_lshlrev_b64_e32 v[34:35], 3, v[52:53]
	v_add_nc_u32_e32 v15, 0xc3, v33
	v_lshlrev_b64_e32 v[52:53], 3, v[64:65]
	v_mad_co_u64_u32 v[56:57], null, s16, v33, 0
	v_add_nc_u32_e32 v64, 0x4e, v58
	s_delay_alu instid0(VALU_DEP_4) | instskip(SKIP_2) | instid1(VALU_DEP_4)
	v_mad_co_u64_u32 v[59:60], null, s16, v15, 0
	v_add_nc_u32_e32 v66, 0x186, v33
	v_add_co_u32 v0, vcc_lo, v68, v0
	v_mul_hi_u32 v65, 0x50150151, v64
	v_mov_b32_e32 v2, v57
	s_wait_alu 0xfffd
	v_add_co_ci_u32_e32 v1, vcc_lo, v69, v1, vcc_lo
	v_mov_b32_e32 v8, v60
	v_add_co_u32 v34, vcc_lo, v68, v34
	v_mad_co_u64_u32 v[60:61], null, s17, v33, v[2:3]
	v_sub_nc_u32_e32 v2, v64, v65
	s_delay_alu instid0(VALU_DEP_4) | instskip(SKIP_1) | instid1(VALU_DEP_3)
	v_mad_co_u64_u32 v[61:62], null, s17, v15, v[8:9]
	v_mad_co_u64_u32 v[62:63], null, s16, v66, 0
	v_lshrrev_b32_e32 v2, 1, v2
	s_wait_alu 0xfffd
	v_add_co_ci_u32_e32 v35, vcc_lo, v69, v35, vcc_lo
	v_add_co_u32 v52, vcc_lo, v68, v52
	s_delay_alu instid0(VALU_DEP_3)
	v_add_nc_u32_e32 v8, v2, v65
	s_wait_alu 0xfffd
	v_add_co_ci_u32_e32 v53, vcc_lo, v69, v53, vcc_lo
	s_clause 0x2
	global_store_b64 v[0:1], v[50:51], off
	global_store_b64 v[34:35], v[54:55], off
	global_store_b64 v[52:53], v[36:37], off
	v_mov_b32_e32 v2, v63
	v_lshrrev_b32_e32 v37, 7, v8
	v_add_nc_u32_e32 v15, 0x249, v33
	v_dual_mov_b32 v57, v60 :: v_dual_mov_b32 v60, v61
	s_delay_alu instid0(VALU_DEP_4) | instskip(NEXT) | instid1(VALU_DEP_4)
	v_mad_co_u64_u32 v[34:35], null, s17, v66, v[2:3]
	v_mul_lo_u32 v2, 0xc3, v37
	s_delay_alu instid0(VALU_DEP_4) | instskip(NEXT) | instid1(VALU_DEP_4)
	v_mad_co_u64_u32 v[35:36], null, s16, v15, 0
	v_lshlrev_b64_e32 v[50:51], 3, v[59:60]
	v_add_nc_u32_e32 v59, 0x30c, v33
	v_lshlrev_b64_e32 v[0:1], 3, v[56:57]
	v_mov_b32_e32 v63, v34
	v_sub_nc_u32_e32 v2, v64, v2
	v_mov_b32_e32 v8, v36
	v_mad_co_u64_u32 v[33:34], null, s16, v59, 0
	v_add_co_u32 v0, vcc_lo, v68, v0
	s_delay_alu instid0(VALU_DEP_4) | instskip(NEXT) | instid1(VALU_DEP_4)
	v_mad_co_u64_u32 v[52:53], null, 0x3cf, v37, v[2:3]
	v_mad_co_u64_u32 v[53:54], null, s17, v15, v[8:9]
	v_lshlrev_b64_e32 v[36:37], 3, v[62:63]
	s_wait_alu 0xfffd
	v_add_co_ci_u32_e32 v1, vcc_lo, v69, v1, vcc_lo
	v_add_co_u32 v50, vcc_lo, v68, v50
	v_mad_co_u64_u32 v[54:55], null, s16, v52, 0
	s_wait_alu 0xfffd
	v_add_co_ci_u32_e32 v51, vcc_lo, v69, v51, vcc_lo
	v_mov_b32_e32 v2, v34
	v_add_co_u32 v56, vcc_lo, v68, v36
	v_mov_b32_e32 v36, v53
	s_clause 0x1
	global_store_b64 v[0:1], v[48:49], off
	global_store_b64 v[50:51], v[44:45], off
	v_mad_co_u64_u32 v[59:60], null, s17, v59, v[2:3]
	s_wait_alu 0xfffd
	v_add_co_ci_u32_e32 v57, vcc_lo, v69, v37, vcc_lo
	v_lshlrev_b64_e32 v[1:2], 3, v[35:36]
	v_mov_b32_e32 v8, v30
	v_dual_mov_b32 v0, v55 :: v_dual_add_nc_u32 v15, 0x75, v58
	v_add_nc_u32_e32 v30, 0xc3, v52
	v_add_nc_u32_e32 v51, 0x186, v52
	global_store_b64 v[56:57], v[7:8], off
	v_mad_co_u64_u32 v[7:8], null, s17, v52, v[0:1]
	v_mul_hi_u32 v37, 0x50150151, v15
	v_add_co_u32 v0, vcc_lo, v68, v1
	s_wait_alu 0xfffd
	v_add_co_ci_u32_e32 v1, vcc_lo, v69, v2, vcc_lo
	v_mad_co_u64_u32 v[44:45], null, s16, v51, 0
	v_mov_b32_e32 v55, v7
	v_mad_co_u64_u32 v[7:8], null, s16, v30, 0
	v_sub_nc_u32_e32 v48, v15, v37
	v_mov_b32_e32 v34, v59
	s_delay_alu instid0(VALU_DEP_4) | instskip(NEXT) | instid1(VALU_DEP_4)
	v_lshlrev_b64_e32 v[35:36], 3, v[54:55]
	v_mov_b32_e32 v2, v8
	s_delay_alu instid0(VALU_DEP_4) | instskip(NEXT) | instid1(VALU_DEP_4)
	v_lshrrev_b32_e32 v8, 1, v48
	v_lshlrev_b64_e32 v[33:34], 3, v[33:34]
	s_delay_alu instid0(VALU_DEP_3) | instskip(NEXT) | instid1(VALU_DEP_3)
	v_mad_co_u64_u32 v[48:49], null, s17, v30, v[2:3]
	v_add_nc_u32_e32 v8, v8, v37
	v_dual_mov_b32 v2, v45 :: v_dual_add_nc_u32 v37, 0x249, v52
	s_delay_alu instid0(VALU_DEP_4) | instskip(NEXT) | instid1(VALU_DEP_3)
	v_add_co_u32 v33, vcc_lo, v68, v33
	v_lshrrev_b32_e32 v30, 7, v8
	s_delay_alu instid0(VALU_DEP_3) | instskip(SKIP_2) | instid1(VALU_DEP_3)
	v_mad_co_u64_u32 v[53:54], null, s17, v51, v[2:3]
	s_wait_alu 0xfffd
	v_add_co_ci_u32_e32 v34, vcc_lo, v69, v34, vcc_lo
	v_mul_lo_u32 v51, 0xc3, v30
	v_add_co_u32 v35, vcc_lo, v68, v35
	v_mad_co_u64_u32 v[49:50], null, s16, v37, 0
	v_mov_b32_e32 v8, v48
	s_wait_alu 0xfffd
	v_add_co_ci_u32_e32 v36, vcc_lo, v69, v36, vcc_lo
	s_clause 0x2
	global_store_b64 v[0:1], v[46:47], off
	global_store_b64 v[33:34], v[40:41], off
	;; [unrolled: 1-line block ×3, first 2 shown]
	v_lshlrev_b64_e32 v[1:2], 3, v[7:8]
	v_sub_nc_u32_e32 v7, v15, v51
	v_dual_mov_b32 v0, v50 :: v_dual_add_nc_u32 v15, 0x30c, v52
	v_mov_b32_e32 v45, v53
	s_delay_alu instid0(VALU_DEP_3) | instskip(NEXT) | instid1(VALU_DEP_3)
	v_mad_co_u64_u32 v[7:8], null, 0x3cf, v30, v[7:8]
	v_mad_co_u64_u32 v[33:34], null, s17, v37, v[0:1]
	s_delay_alu instid0(VALU_DEP_4) | instskip(SKIP_1) | instid1(VALU_DEP_4)
	v_mad_co_u64_u32 v[36:37], null, s16, v15, 0
	v_add_co_u32 v0, vcc_lo, v68, v1
	v_mad_co_u64_u32 v[40:41], null, s16, v7, 0
	s_wait_alu 0xfffd
	v_add_co_ci_u32_e32 v1, vcc_lo, v69, v2, vcc_lo
	s_delay_alu instid0(VALU_DEP_4)
	v_mov_b32_e32 v2, v37
	v_mov_b32_e32 v50, v33
	v_lshlrev_b64_e32 v[34:35], 3, v[44:45]
	v_add_nc_u32_e32 v30, 0xc3, v7
	v_mov_b32_e32 v8, v41
	v_mad_co_u64_u32 v[44:45], null, s17, v15, v[2:3]
	v_lshlrev_b64_e32 v[42:43], 3, v[49:50]
	v_add_co_u32 v33, vcc_lo, v68, v34
	s_delay_alu instid0(VALU_DEP_4)
	v_mad_co_u64_u32 v[45:46], null, s17, v7, v[8:9]
	v_mad_co_u64_u32 v[46:47], null, s16, v30, 0
	s_wait_alu 0xfffd
	v_add_co_ci_u32_e32 v34, vcc_lo, v69, v35, vcc_lo
	v_add_co_u32 v41, vcc_lo, v68, v42
	v_mov_b32_e32 v37, v44
	s_wait_alu 0xfffd
	v_add_co_ci_u32_e32 v42, vcc_lo, v69, v43, vcc_lo
	v_add_nc_u32_e32 v15, 0x9c, v58
	s_clause 0x1
	global_store_b64 v[0:1], v[28:29], off
	global_store_b64 v[33:34], v[31:32], off
	v_lshlrev_b64_e32 v[1:2], 3, v[36:37]
	v_mov_b32_e32 v0, v47
	global_store_b64 v[41:42], v[38:39], off
	v_mov_b32_e32 v41, v45
	v_add_nc_u32_e32 v37, 0x186, v7
	v_mul_hi_u32 v39, 0x50150151, v15
	v_mad_co_u64_u32 v[28:29], null, s17, v30, v[0:1]
	s_delay_alu instid0(VALU_DEP_4) | instskip(SKIP_4) | instid1(VALU_DEP_4)
	v_lshlrev_b64_e32 v[29:30], 3, v[40:41]
	v_add_nc_u32_e32 v40, 0x249, v7
	v_mad_co_u64_u32 v[31:32], null, s16, v37, 0
	v_add_co_u32 v0, vcc_lo, v68, v1
	v_sub_nc_u32_e32 v8, v15, v39
	v_mad_co_u64_u32 v[33:34], null, s16, v40, 0
	s_wait_alu 0xfffd
	v_add_co_ci_u32_e32 v1, vcc_lo, v69, v2, vcc_lo
	v_mov_b32_e32 v47, v28
	v_add_co_u32 v28, vcc_lo, v68, v29
	s_wait_alu 0xfffd
	v_add_co_ci_u32_e32 v29, vcc_lo, v69, v30, vcc_lo
	v_mov_b32_e32 v2, v32
	v_lshrrev_b32_e32 v30, 1, v8
	v_dual_mov_b32 v8, v34 :: v_dual_add_nc_u32 v41, 0x30c, v7
	v_lshlrev_b64_e32 v[35:36], 3, v[46:47]
	s_delay_alu instid0(VALU_DEP_4) | instskip(NEXT) | instid1(VALU_DEP_4)
	v_mad_co_u64_u32 v[37:38], null, s17, v37, v[2:3]
	v_add_nc_u32_e32 v2, v30, v39
	s_delay_alu instid0(VALU_DEP_4) | instskip(SKIP_1) | instid1(VALU_DEP_3)
	v_mad_co_u64_u32 v[7:8], null, s17, v40, v[8:9]
	v_mad_co_u64_u32 v[38:39], null, s16, v41, 0
	v_lshrrev_b32_e32 v8, 7, v2
	v_mov_b32_e32 v32, v37
	v_add_co_u32 v35, vcc_lo, v68, v35
	global_store_b64 v[0:1], v[26:27], off
	v_mul_lo_u32 v30, 0xc3, v8
	v_lshlrev_b64_e32 v[1:2], 3, v[31:32]
	s_wait_alu 0xfffd
	v_add_co_ci_u32_e32 v36, vcc_lo, v69, v36, vcc_lo
	v_mov_b32_e32 v34, v7
	v_mov_b32_e32 v0, v39
	s_clause 0x1
	global_store_b64 v[28:29], v[24:25], off
	global_store_b64 v[35:36], v[22:23], off
	v_sub_nc_u32_e32 v7, v15, v30
	v_lshlrev_b64_e32 v[22:23], 3, v[33:34]
	v_mad_co_u64_u32 v[24:25], null, s17, v41, v[0:1]
	v_add_co_u32 v0, vcc_lo, v68, v1
	s_delay_alu instid0(VALU_DEP_4)
	v_mad_co_u64_u32 v[7:8], null, 0x3cf, v8, v[7:8]
	s_wait_alu 0xfffd
	v_add_co_ci_u32_e32 v1, vcc_lo, v69, v2, vcc_lo
	v_add_co_u32 v22, vcc_lo, v68, v22
	s_wait_alu 0xfffd
	v_add_co_ci_u32_e32 v23, vcc_lo, v69, v23, vcc_lo
	v_mov_b32_e32 v39, v24
	v_mad_co_u64_u32 v[24:25], null, s16, v7, 0
	v_add_nc_u32_e32 v26, 0xc3, v7
	s_clause 0x1
	global_store_b64 v[0:1], v[20:21], off
	global_store_b64 v[22:23], v[13:14], off
	v_add_nc_u32_e32 v28, 0x186, v7
	v_lshlrev_b64_e32 v[0:1], 3, v[38:39]
	v_mad_co_u64_u32 v[13:14], null, s16, v26, 0
	v_mov_b32_e32 v2, v25
	s_delay_alu instid0(VALU_DEP_4) | instskip(NEXT) | instid1(VALU_DEP_4)
	v_mad_co_u64_u32 v[20:21], null, s16, v28, 0
	v_add_co_u32 v0, vcc_lo, v68, v0
	s_wait_alu 0xfffd
	v_add_co_ci_u32_e32 v1, vcc_lo, v69, v1, vcc_lo
	v_mov_b32_e32 v8, v14
	v_mad_co_u64_u32 v[14:15], null, s17, v7, v[2:3]
	v_dual_mov_b32 v2, v21 :: v_dual_add_nc_u32 v15, 0x249, v7
	s_delay_alu instid0(VALU_DEP_3) | instskip(SKIP_1) | instid1(VALU_DEP_3)
	v_mad_co_u64_u32 v[22:23], null, s17, v26, v[8:9]
	v_add_nc_u32_e32 v23, 0x30c, v7
	v_mad_co_u64_u32 v[26:27], null, s16, v15, 0
	v_mov_b32_e32 v25, v14
	v_mad_co_u64_u32 v[7:8], null, s17, v28, v[2:3]
	s_delay_alu instid0(VALU_DEP_4) | instskip(SKIP_4) | instid1(VALU_DEP_2)
	v_mad_co_u64_u32 v[28:29], null, s16, v23, 0
	global_store_b64 v[0:1], v[11:12], off
	v_lshlrev_b64_e32 v[1:2], 3, v[24:25]
	v_mov_b32_e32 v0, v27
	v_dual_mov_b32 v14, v22 :: v_dual_mov_b32 v21, v7
	v_mad_co_u64_u32 v[7:8], null, s17, v15, v[0:1]
	v_mov_b32_e32 v0, v29
	v_add_co_u32 v1, vcc_lo, v68, v1
	s_delay_alu instid0(VALU_DEP_4) | instskip(SKIP_2) | instid1(VALU_DEP_3)
	v_lshlrev_b64_e32 v[11:12], 3, v[13:14]
	s_wait_alu 0xfffd
	v_add_co_ci_u32_e32 v2, vcc_lo, v69, v2, vcc_lo
	v_mad_co_u64_u32 v[13:14], null, s17, v23, v[0:1]
	v_mov_b32_e32 v27, v7
	v_lshlrev_b64_e32 v[14:15], 3, v[20:21]
	v_add_co_u32 v7, vcc_lo, v68, v11
	s_wait_alu 0xfffd
	v_add_co_ci_u32_e32 v8, vcc_lo, v69, v12, vcc_lo
	v_mov_b32_e32 v29, v13
	v_lshlrev_b64_e32 v[11:12], 3, v[26:27]
	v_add_co_u32 v13, vcc_lo, v68, v14
	s_wait_alu 0xfffd
	v_add_co_ci_u32_e32 v14, vcc_lo, v69, v15, vcc_lo
	v_lshlrev_b64_e32 v[20:21], 3, v[28:29]
	s_delay_alu instid0(VALU_DEP_4) | instskip(SKIP_2) | instid1(VALU_DEP_3)
	v_add_co_u32 v11, vcc_lo, v68, v11
	s_wait_alu 0xfffd
	v_add_co_ci_u32_e32 v12, vcc_lo, v69, v12, vcc_lo
	v_add_co_u32 v20, vcc_lo, v68, v20
	s_wait_alu 0xfffd
	v_add_co_ci_u32_e32 v21, vcc_lo, v69, v21, vcc_lo
	s_clause 0x4
	global_store_b64 v[1:2], v[9:10], off
	global_store_b64 v[7:8], v[5:6], off
	;; [unrolled: 1-line block ×5, first 2 shown]
.LBB0_28:
	s_nop 0
	s_sendmsg sendmsg(MSG_DEALLOC_VGPRS)
	s_endpgm
	.section	.rodata,"a",@progbits
	.p2align	6, 0x0
	.amdhsa_kernel fft_rtc_fwd_len975_factors_13_5_3_5_wgs_117_tpt_39_halfLds_sp_op_CI_CI_sbrr_dirReg
		.amdhsa_group_segment_fixed_size 0
		.amdhsa_private_segment_fixed_size 0
		.amdhsa_kernarg_size 104
		.amdhsa_user_sgpr_count 2
		.amdhsa_user_sgpr_dispatch_ptr 0
		.amdhsa_user_sgpr_queue_ptr 0
		.amdhsa_user_sgpr_kernarg_segment_ptr 1
		.amdhsa_user_sgpr_dispatch_id 0
		.amdhsa_user_sgpr_private_segment_size 0
		.amdhsa_wavefront_size32 1
		.amdhsa_uses_dynamic_stack 0
		.amdhsa_enable_private_segment 0
		.amdhsa_system_sgpr_workgroup_id_x 1
		.amdhsa_system_sgpr_workgroup_id_y 0
		.amdhsa_system_sgpr_workgroup_id_z 0
		.amdhsa_system_sgpr_workgroup_info 0
		.amdhsa_system_vgpr_workitem_id 0
		.amdhsa_next_free_vgpr 136
		.amdhsa_next_free_sgpr 43
		.amdhsa_reserve_vcc 1
		.amdhsa_float_round_mode_32 0
		.amdhsa_float_round_mode_16_64 0
		.amdhsa_float_denorm_mode_32 3
		.amdhsa_float_denorm_mode_16_64 3
		.amdhsa_fp16_overflow 0
		.amdhsa_workgroup_processor_mode 1
		.amdhsa_memory_ordered 1
		.amdhsa_forward_progress 0
		.amdhsa_round_robin_scheduling 0
		.amdhsa_exception_fp_ieee_invalid_op 0
		.amdhsa_exception_fp_denorm_src 0
		.amdhsa_exception_fp_ieee_div_zero 0
		.amdhsa_exception_fp_ieee_overflow 0
		.amdhsa_exception_fp_ieee_underflow 0
		.amdhsa_exception_fp_ieee_inexact 0
		.amdhsa_exception_int_div_zero 0
	.end_amdhsa_kernel
	.text
.Lfunc_end0:
	.size	fft_rtc_fwd_len975_factors_13_5_3_5_wgs_117_tpt_39_halfLds_sp_op_CI_CI_sbrr_dirReg, .Lfunc_end0-fft_rtc_fwd_len975_factors_13_5_3_5_wgs_117_tpt_39_halfLds_sp_op_CI_CI_sbrr_dirReg
                                        ; -- End function
	.section	.AMDGPU.csdata,"",@progbits
; Kernel info:
; codeLenInByte = 20840
; NumSgprs: 45
; NumVgprs: 136
; ScratchSize: 0
; MemoryBound: 0
; FloatMode: 240
; IeeeMode: 1
; LDSByteSize: 0 bytes/workgroup (compile time only)
; SGPRBlocks: 5
; VGPRBlocks: 16
; NumSGPRsForWavesPerEU: 45
; NumVGPRsForWavesPerEU: 136
; Occupancy: 10
; WaveLimiterHint : 1
; COMPUTE_PGM_RSRC2:SCRATCH_EN: 0
; COMPUTE_PGM_RSRC2:USER_SGPR: 2
; COMPUTE_PGM_RSRC2:TRAP_HANDLER: 0
; COMPUTE_PGM_RSRC2:TGID_X_EN: 1
; COMPUTE_PGM_RSRC2:TGID_Y_EN: 0
; COMPUTE_PGM_RSRC2:TGID_Z_EN: 0
; COMPUTE_PGM_RSRC2:TIDIG_COMP_CNT: 0
	.text
	.p2alignl 7, 3214868480
	.fill 96, 4, 3214868480
	.type	__hip_cuid_a5fb2fce23c67a2a,@object ; @__hip_cuid_a5fb2fce23c67a2a
	.section	.bss,"aw",@nobits
	.globl	__hip_cuid_a5fb2fce23c67a2a
__hip_cuid_a5fb2fce23c67a2a:
	.byte	0                               ; 0x0
	.size	__hip_cuid_a5fb2fce23c67a2a, 1

	.ident	"AMD clang version 19.0.0git (https://github.com/RadeonOpenCompute/llvm-project roc-6.4.0 25133 c7fe45cf4b819c5991fe208aaa96edf142730f1d)"
	.section	".note.GNU-stack","",@progbits
	.addrsig
	.addrsig_sym __hip_cuid_a5fb2fce23c67a2a
	.amdgpu_metadata
---
amdhsa.kernels:
  - .args:
      - .actual_access:  read_only
        .address_space:  global
        .offset:         0
        .size:           8
        .value_kind:     global_buffer
      - .offset:         8
        .size:           8
        .value_kind:     by_value
      - .actual_access:  read_only
        .address_space:  global
        .offset:         16
        .size:           8
        .value_kind:     global_buffer
      - .actual_access:  read_only
        .address_space:  global
        .offset:         24
        .size:           8
        .value_kind:     global_buffer
      - .actual_access:  read_only
        .address_space:  global
        .offset:         32
        .size:           8
        .value_kind:     global_buffer
      - .offset:         40
        .size:           8
        .value_kind:     by_value
      - .actual_access:  read_only
        .address_space:  global
        .offset:         48
        .size:           8
        .value_kind:     global_buffer
      - .actual_access:  read_only
        .address_space:  global
        .offset:         56
        .size:           8
        .value_kind:     global_buffer
      - .offset:         64
        .size:           4
        .value_kind:     by_value
      - .actual_access:  read_only
        .address_space:  global
        .offset:         72
        .size:           8
        .value_kind:     global_buffer
      - .actual_access:  read_only
        .address_space:  global
        .offset:         80
        .size:           8
        .value_kind:     global_buffer
      - .actual_access:  read_only
        .address_space:  global
        .offset:         88
        .size:           8
        .value_kind:     global_buffer
      - .actual_access:  write_only
        .address_space:  global
        .offset:         96
        .size:           8
        .value_kind:     global_buffer
    .group_segment_fixed_size: 0
    .kernarg_segment_align: 8
    .kernarg_segment_size: 104
    .language:       OpenCL C
    .language_version:
      - 2
      - 0
    .max_flat_workgroup_size: 117
    .name:           fft_rtc_fwd_len975_factors_13_5_3_5_wgs_117_tpt_39_halfLds_sp_op_CI_CI_sbrr_dirReg
    .private_segment_fixed_size: 0
    .sgpr_count:     45
    .sgpr_spill_count: 0
    .symbol:         fft_rtc_fwd_len975_factors_13_5_3_5_wgs_117_tpt_39_halfLds_sp_op_CI_CI_sbrr_dirReg.kd
    .uniform_work_group_size: 1
    .uses_dynamic_stack: false
    .vgpr_count:     136
    .vgpr_spill_count: 0
    .wavefront_size: 32
    .workgroup_processor_mode: 1
amdhsa.target:   amdgcn-amd-amdhsa--gfx1201
amdhsa.version:
  - 1
  - 2
...

	.end_amdgpu_metadata
